;; amdgpu-corpus repo=ROCm/rocFFT kind=compiled arch=gfx1201 opt=O3
	.text
	.amdgcn_target "amdgcn-amd-amdhsa--gfx1201"
	.amdhsa_code_object_version 6
	.protected	fft_rtc_fwd_len1326_factors_17_6_13_wgs_204_tpt_102_halfLds_sp_ip_CI_unitstride_sbrr_dirReg ; -- Begin function fft_rtc_fwd_len1326_factors_17_6_13_wgs_204_tpt_102_halfLds_sp_ip_CI_unitstride_sbrr_dirReg
	.globl	fft_rtc_fwd_len1326_factors_17_6_13_wgs_204_tpt_102_halfLds_sp_ip_CI_unitstride_sbrr_dirReg
	.p2align	8
	.type	fft_rtc_fwd_len1326_factors_17_6_13_wgs_204_tpt_102_halfLds_sp_ip_CI_unitstride_sbrr_dirReg,@function
fft_rtc_fwd_len1326_factors_17_6_13_wgs_204_tpt_102_halfLds_sp_ip_CI_unitstride_sbrr_dirReg: ; @fft_rtc_fwd_len1326_factors_17_6_13_wgs_204_tpt_102_halfLds_sp_ip_CI_unitstride_sbrr_dirReg
; %bb.0:
	s_clause 0x2
	s_load_b128 s[4:7], s[0:1], 0x0
	s_load_b64 s[8:9], s[0:1], 0x50
	s_load_b64 s[10:11], s[0:1], 0x18
	v_mul_u32_u24_e32 v1, 0x283, v0
	v_mov_b32_e32 v3, 0
	s_delay_alu instid0(VALU_DEP_2) | instskip(SKIP_2) | instid1(VALU_DEP_4)
	v_lshrrev_b32_e32 v9, 16, v1
	v_mov_b32_e32 v1, 0
	v_mov_b32_e32 v2, 0
	;; [unrolled: 1-line block ×3, first 2 shown]
	s_delay_alu instid0(VALU_DEP_4) | instskip(SKIP_2) | instid1(VALU_DEP_1)
	v_lshl_add_u32 v5, ttmp9, 1, v9
	s_wait_kmcnt 0x0
	v_cmp_lt_u64_e64 s2, s[6:7], 2
	s_and_b32 vcc_lo, exec_lo, s2
	s_cbranch_vccnz .LBB0_8
; %bb.1:
	s_load_b64 s[2:3], s[0:1], 0x10
	v_mov_b32_e32 v1, 0
	v_mov_b32_e32 v2, 0
	s_add_nc_u64 s[12:13], s[10:11], 8
	s_mov_b64 s[14:15], 1
	s_wait_kmcnt 0x0
	s_add_nc_u64 s[16:17], s[2:3], 8
	s_mov_b32 s3, 0
.LBB0_2:                                ; =>This Inner Loop Header: Depth=1
	s_load_b64 s[18:19], s[16:17], 0x0
                                        ; implicit-def: $vgpr7_vgpr8
	s_mov_b32 s2, exec_lo
	s_wait_kmcnt 0x0
	v_or_b32_e32 v4, s19, v6
	s_delay_alu instid0(VALU_DEP_1)
	v_cmpx_ne_u64_e32 0, v[3:4]
	s_wait_alu 0xfffe
	s_xor_b32 s20, exec_lo, s2
	s_cbranch_execz .LBB0_4
; %bb.3:                                ;   in Loop: Header=BB0_2 Depth=1
	s_cvt_f32_u32 s2, s18
	s_cvt_f32_u32 s21, s19
	s_sub_nc_u64 s[24:25], 0, s[18:19]
	s_wait_alu 0xfffe
	s_delay_alu instid0(SALU_CYCLE_1) | instskip(SKIP_1) | instid1(SALU_CYCLE_2)
	s_fmamk_f32 s2, s21, 0x4f800000, s2
	s_wait_alu 0xfffe
	v_s_rcp_f32 s2, s2
	s_delay_alu instid0(TRANS32_DEP_1) | instskip(SKIP_1) | instid1(SALU_CYCLE_2)
	s_mul_f32 s2, s2, 0x5f7ffffc
	s_wait_alu 0xfffe
	s_mul_f32 s21, s2, 0x2f800000
	s_wait_alu 0xfffe
	s_delay_alu instid0(SALU_CYCLE_2) | instskip(SKIP_1) | instid1(SALU_CYCLE_2)
	s_trunc_f32 s21, s21
	s_wait_alu 0xfffe
	s_fmamk_f32 s2, s21, 0xcf800000, s2
	s_cvt_u32_f32 s23, s21
	s_wait_alu 0xfffe
	s_delay_alu instid0(SALU_CYCLE_1) | instskip(SKIP_1) | instid1(SALU_CYCLE_2)
	s_cvt_u32_f32 s22, s2
	s_wait_alu 0xfffe
	s_mul_u64 s[26:27], s[24:25], s[22:23]
	s_wait_alu 0xfffe
	s_mul_hi_u32 s29, s22, s27
	s_mul_i32 s28, s22, s27
	s_mul_hi_u32 s2, s22, s26
	s_mul_i32 s30, s23, s26
	s_wait_alu 0xfffe
	s_add_nc_u64 s[28:29], s[2:3], s[28:29]
	s_mul_hi_u32 s21, s23, s26
	s_mul_hi_u32 s31, s23, s27
	s_add_co_u32 s2, s28, s30
	s_wait_alu 0xfffe
	s_add_co_ci_u32 s2, s29, s21
	s_mul_i32 s26, s23, s27
	s_add_co_ci_u32 s27, s31, 0
	s_wait_alu 0xfffe
	s_add_nc_u64 s[26:27], s[2:3], s[26:27]
	s_wait_alu 0xfffe
	v_add_co_u32 v4, s2, s22, s26
	s_delay_alu instid0(VALU_DEP_1) | instskip(SKIP_1) | instid1(VALU_DEP_1)
	s_cmp_lg_u32 s2, 0
	s_add_co_ci_u32 s23, s23, s27
	v_readfirstlane_b32 s22, v4
	s_wait_alu 0xfffe
	s_delay_alu instid0(VALU_DEP_1)
	s_mul_u64 s[24:25], s[24:25], s[22:23]
	s_wait_alu 0xfffe
	s_mul_hi_u32 s27, s22, s25
	s_mul_i32 s26, s22, s25
	s_mul_hi_u32 s2, s22, s24
	s_mul_i32 s28, s23, s24
	s_wait_alu 0xfffe
	s_add_nc_u64 s[26:27], s[2:3], s[26:27]
	s_mul_hi_u32 s21, s23, s24
	s_mul_hi_u32 s22, s23, s25
	s_wait_alu 0xfffe
	s_add_co_u32 s2, s26, s28
	s_add_co_ci_u32 s2, s27, s21
	s_mul_i32 s24, s23, s25
	s_add_co_ci_u32 s25, s22, 0
	s_wait_alu 0xfffe
	s_add_nc_u64 s[24:25], s[2:3], s[24:25]
	s_wait_alu 0xfffe
	v_add_co_u32 v4, s2, v4, s24
	s_delay_alu instid0(VALU_DEP_1) | instskip(SKIP_1) | instid1(VALU_DEP_1)
	s_cmp_lg_u32 s2, 0
	s_add_co_ci_u32 s2, s23, s25
	v_mul_hi_u32 v14, v5, v4
	s_wait_alu 0xfffe
	v_mad_co_u64_u32 v[7:8], null, v5, s2, 0
	v_mad_co_u64_u32 v[10:11], null, v6, v4, 0
	;; [unrolled: 1-line block ×3, first 2 shown]
	s_delay_alu instid0(VALU_DEP_3) | instskip(SKIP_1) | instid1(VALU_DEP_4)
	v_add_co_u32 v4, vcc_lo, v14, v7
	s_wait_alu 0xfffd
	v_add_co_ci_u32_e32 v7, vcc_lo, 0, v8, vcc_lo
	s_delay_alu instid0(VALU_DEP_2) | instskip(SKIP_1) | instid1(VALU_DEP_2)
	v_add_co_u32 v4, vcc_lo, v4, v10
	s_wait_alu 0xfffd
	v_add_co_ci_u32_e32 v4, vcc_lo, v7, v11, vcc_lo
	s_wait_alu 0xfffd
	v_add_co_ci_u32_e32 v7, vcc_lo, 0, v13, vcc_lo
	s_delay_alu instid0(VALU_DEP_2) | instskip(SKIP_1) | instid1(VALU_DEP_2)
	v_add_co_u32 v4, vcc_lo, v4, v12
	s_wait_alu 0xfffd
	v_add_co_ci_u32_e32 v10, vcc_lo, 0, v7, vcc_lo
	s_delay_alu instid0(VALU_DEP_2) | instskip(SKIP_1) | instid1(VALU_DEP_3)
	v_mul_lo_u32 v11, s19, v4
	v_mad_co_u64_u32 v[7:8], null, s18, v4, 0
	v_mul_lo_u32 v12, s18, v10
	s_delay_alu instid0(VALU_DEP_2) | instskip(NEXT) | instid1(VALU_DEP_2)
	v_sub_co_u32 v7, vcc_lo, v5, v7
	v_add3_u32 v8, v8, v12, v11
	s_delay_alu instid0(VALU_DEP_1) | instskip(SKIP_1) | instid1(VALU_DEP_1)
	v_sub_nc_u32_e32 v11, v6, v8
	s_wait_alu 0xfffd
	v_subrev_co_ci_u32_e64 v11, s2, s19, v11, vcc_lo
	v_add_co_u32 v12, s2, v4, 2
	s_wait_alu 0xf1ff
	v_add_co_ci_u32_e64 v13, s2, 0, v10, s2
	v_sub_co_u32 v14, s2, v7, s18
	v_sub_co_ci_u32_e32 v8, vcc_lo, v6, v8, vcc_lo
	s_wait_alu 0xf1ff
	v_subrev_co_ci_u32_e64 v11, s2, 0, v11, s2
	s_delay_alu instid0(VALU_DEP_3) | instskip(NEXT) | instid1(VALU_DEP_3)
	v_cmp_le_u32_e32 vcc_lo, s18, v14
	v_cmp_eq_u32_e64 s2, s19, v8
	s_wait_alu 0xfffd
	v_cndmask_b32_e64 v14, 0, -1, vcc_lo
	v_cmp_le_u32_e32 vcc_lo, s19, v11
	s_wait_alu 0xfffd
	v_cndmask_b32_e64 v15, 0, -1, vcc_lo
	v_cmp_le_u32_e32 vcc_lo, s18, v7
	;; [unrolled: 3-line block ×3, first 2 shown]
	s_wait_alu 0xfffd
	v_cndmask_b32_e64 v16, 0, -1, vcc_lo
	v_cmp_eq_u32_e32 vcc_lo, s19, v11
	s_wait_alu 0xf1ff
	s_delay_alu instid0(VALU_DEP_2)
	v_cndmask_b32_e64 v7, v16, v7, s2
	s_wait_alu 0xfffd
	v_cndmask_b32_e32 v11, v15, v14, vcc_lo
	v_add_co_u32 v14, vcc_lo, v4, 1
	s_wait_alu 0xfffd
	v_add_co_ci_u32_e32 v15, vcc_lo, 0, v10, vcc_lo
	s_delay_alu instid0(VALU_DEP_3) | instskip(SKIP_1) | instid1(VALU_DEP_2)
	v_cmp_ne_u32_e32 vcc_lo, 0, v11
	s_wait_alu 0xfffd
	v_dual_cndmask_b32 v8, v15, v13 :: v_dual_cndmask_b32 v11, v14, v12
	v_cmp_ne_u32_e32 vcc_lo, 0, v7
	s_wait_alu 0xfffd
	s_delay_alu instid0(VALU_DEP_2)
	v_dual_cndmask_b32 v8, v10, v8 :: v_dual_cndmask_b32 v7, v4, v11
.LBB0_4:                                ;   in Loop: Header=BB0_2 Depth=1
	s_wait_alu 0xfffe
	s_and_not1_saveexec_b32 s2, s20
	s_cbranch_execz .LBB0_6
; %bb.5:                                ;   in Loop: Header=BB0_2 Depth=1
	v_cvt_f32_u32_e32 v4, s18
	s_sub_co_i32 s20, 0, s18
	s_delay_alu instid0(VALU_DEP_1) | instskip(NEXT) | instid1(TRANS32_DEP_1)
	v_rcp_iflag_f32_e32 v4, v4
	v_mul_f32_e32 v4, 0x4f7ffffe, v4
	s_delay_alu instid0(VALU_DEP_1) | instskip(SKIP_1) | instid1(VALU_DEP_1)
	v_cvt_u32_f32_e32 v4, v4
	s_wait_alu 0xfffe
	v_mul_lo_u32 v7, s20, v4
	s_delay_alu instid0(VALU_DEP_1) | instskip(NEXT) | instid1(VALU_DEP_1)
	v_mul_hi_u32 v7, v4, v7
	v_add_nc_u32_e32 v4, v4, v7
	s_delay_alu instid0(VALU_DEP_1) | instskip(NEXT) | instid1(VALU_DEP_1)
	v_mul_hi_u32 v4, v5, v4
	v_mul_lo_u32 v7, v4, s18
	v_add_nc_u32_e32 v8, 1, v4
	s_delay_alu instid0(VALU_DEP_2) | instskip(NEXT) | instid1(VALU_DEP_1)
	v_sub_nc_u32_e32 v7, v5, v7
	v_subrev_nc_u32_e32 v10, s18, v7
	v_cmp_le_u32_e32 vcc_lo, s18, v7
	s_wait_alu 0xfffd
	s_delay_alu instid0(VALU_DEP_2) | instskip(NEXT) | instid1(VALU_DEP_1)
	v_dual_cndmask_b32 v7, v7, v10 :: v_dual_cndmask_b32 v4, v4, v8
	v_cmp_le_u32_e32 vcc_lo, s18, v7
	s_delay_alu instid0(VALU_DEP_2) | instskip(SKIP_1) | instid1(VALU_DEP_1)
	v_add_nc_u32_e32 v8, 1, v4
	s_wait_alu 0xfffd
	v_dual_cndmask_b32 v7, v4, v8 :: v_dual_mov_b32 v8, v3
.LBB0_6:                                ;   in Loop: Header=BB0_2 Depth=1
	s_wait_alu 0xfffe
	s_or_b32 exec_lo, exec_lo, s2
	s_load_b64 s[20:21], s[12:13], 0x0
	s_delay_alu instid0(VALU_DEP_1)
	v_mul_lo_u32 v4, v8, s18
	v_mul_lo_u32 v12, v7, s19
	v_mad_co_u64_u32 v[10:11], null, v7, s18, 0
	s_add_nc_u64 s[14:15], s[14:15], 1
	s_add_nc_u64 s[12:13], s[12:13], 8
	s_wait_alu 0xfffe
	v_cmp_ge_u64_e64 s2, s[14:15], s[6:7]
	s_add_nc_u64 s[16:17], s[16:17], 8
	s_delay_alu instid0(VALU_DEP_2) | instskip(NEXT) | instid1(VALU_DEP_3)
	v_add3_u32 v4, v11, v12, v4
	v_sub_co_u32 v5, vcc_lo, v5, v10
	s_wait_alu 0xfffd
	s_delay_alu instid0(VALU_DEP_2) | instskip(SKIP_3) | instid1(VALU_DEP_2)
	v_sub_co_ci_u32_e32 v4, vcc_lo, v6, v4, vcc_lo
	s_and_b32 vcc_lo, exec_lo, s2
	s_wait_kmcnt 0x0
	v_mul_lo_u32 v6, s21, v5
	v_mul_lo_u32 v4, s20, v4
	v_mad_co_u64_u32 v[1:2], null, s20, v5, v[1:2]
	s_delay_alu instid0(VALU_DEP_1)
	v_add3_u32 v2, v6, v2, v4
	s_wait_alu 0xfffe
	s_cbranch_vccnz .LBB0_9
; %bb.7:                                ;   in Loop: Header=BB0_2 Depth=1
	v_dual_mov_b32 v5, v7 :: v_dual_mov_b32 v6, v8
	s_branch .LBB0_2
.LBB0_8:
	v_dual_mov_b32 v8, v6 :: v_dual_mov_b32 v7, v5
.LBB0_9:
	s_lshl_b64 s[2:3], s[6:7], 3
	v_mul_hi_u32 v3, 0x2828283, v0
	s_wait_alu 0xfffe
	s_add_nc_u64 s[2:3], s[10:11], s[2:3]
	v_dual_mov_b32 v11, 0 :: v_dual_mov_b32 v10, 0
	s_load_b64 s[2:3], s[2:3], 0x0
	s_load_b64 s[0:1], s[0:1], 0x20
                                        ; implicit-def: $vgpr43
                                        ; implicit-def: $vgpr41
                                        ; implicit-def: $vgpr39
                                        ; implicit-def: $vgpr37
                                        ; implicit-def: $vgpr35
                                        ; implicit-def: $vgpr33
                                        ; implicit-def: $vgpr31
                                        ; implicit-def: $vgpr29
                                        ; implicit-def: $vgpr13
                                        ; implicit-def: $vgpr15
                                        ; implicit-def: $vgpr17
                                        ; implicit-def: $vgpr19
                                        ; implicit-def: $vgpr21
                                        ; implicit-def: $vgpr23
                                        ; implicit-def: $vgpr25
                                        ; implicit-def: $vgpr27
	s_delay_alu instid0(VALU_DEP_2) | instskip(SKIP_1) | instid1(VALU_DEP_2)
	v_mul_u32_u24_e32 v4, 0x66, v3
	v_mov_b32_e32 v3, 0
	v_sub_nc_u32_e32 v4, v0, v4
	s_wait_kmcnt 0x0
	v_mul_lo_u32 v5, s2, v8
	v_mul_lo_u32 v6, s3, v7
	v_mad_co_u64_u32 v[1:2], null, s2, v7, v[1:2]
	v_cmp_gt_u64_e32 vcc_lo, s[0:1], v[7:8]
	s_delay_alu instid0(VALU_DEP_2)
	v_add3_u32 v2, v6, v2, v5
	s_and_saveexec_b32 s1, vcc_lo
	s_cbranch_execz .LBB0_13
; %bb.10:
	v_dual_mov_b32 v10, 0 :: v_dual_mov_b32 v11, 0
	s_mov_b32 s2, exec_lo
                                        ; implicit-def: $vgpr26
                                        ; implicit-def: $vgpr24
                                        ; implicit-def: $vgpr22
                                        ; implicit-def: $vgpr20
                                        ; implicit-def: $vgpr18
                                        ; implicit-def: $vgpr16
                                        ; implicit-def: $vgpr14
                                        ; implicit-def: $vgpr12
                                        ; implicit-def: $vgpr28
                                        ; implicit-def: $vgpr30
                                        ; implicit-def: $vgpr32
                                        ; implicit-def: $vgpr34
                                        ; implicit-def: $vgpr36
                                        ; implicit-def: $vgpr38
                                        ; implicit-def: $vgpr40
                                        ; implicit-def: $vgpr42
	v_cmpx_gt_u32_e32 0x4e, v4
; %bb.11:
	v_mov_b32_e32 v5, 0
	v_lshlrev_b64_e32 v[6:7], 3, v[1:2]
	s_delay_alu instid0(VALU_DEP_2) | instskip(NEXT) | instid1(VALU_DEP_2)
	v_lshlrev_b64_e32 v[10:11], 3, v[4:5]
	v_add_co_u32 v0, s0, s8, v6
	s_wait_alu 0xf1ff
	s_delay_alu instid0(VALU_DEP_3) | instskip(NEXT) | instid1(VALU_DEP_2)
	v_add_co_ci_u32_e64 v3, s0, s9, v7, s0
	v_add_co_u32 v5, s0, v0, v10
	s_wait_alu 0xf1ff
	s_delay_alu instid0(VALU_DEP_2)
	v_add_co_ci_u32_e64 v6, s0, v3, v11, s0
	s_clause 0x10
	global_load_b64 v[10:11], v[5:6], off
	global_load_b64 v[42:43], v[5:6], off offset:624
	global_load_b64 v[40:41], v[5:6], off offset:1248
	;; [unrolled: 1-line block ×16, first 2 shown]
; %bb.12:
	s_wait_alu 0xfffe
	s_or_b32 exec_lo, exec_lo, s2
	v_mov_b32_e32 v3, v4
.LBB0_13:
	s_wait_alu 0xfffe
	s_or_b32 exec_lo, exec_lo, s1
	s_wait_loadcnt 0x0
	v_dual_add_f32 v67, v42, v12 :: v_dual_add_f32 v70, v40, v14
	v_sub_f32_e32 v83, v43, v13
	v_cmp_gt_u32_e64 s1, 0x4e, v4
	v_add_f32_e32 v86, v38, v16
	s_delay_alu instid0(VALU_DEP_4)
	v_mul_f32_e32 v44, 0x3f3d2fb0, v67
	v_sub_f32_e32 v69, v41, v15
	v_mul_f32_e32 v46, 0x3ee437d1, v67
	v_mul_f32_e32 v68, 0xbf59a7d5, v70
	;; [unrolled: 1-line block ×3, first 2 shown]
	v_fmamk_f32 v0, v83, 0xbf2c7751, v44
	v_dual_mul_f32 v57, 0x3dbcf732, v67 :: v_dual_add_f32 v90, v36, v18
	s_delay_alu instid0(VALU_DEP_4) | instskip(SKIP_1) | instid1(VALU_DEP_4)
	v_fmamk_f32 v51, v69, 0x3f06c442, v68
	v_dual_mul_f32 v59, 0xbf7ba420, v70 :: v_dual_sub_f32 v78, v39, v17
	v_dual_add_f32 v0, v10, v0 :: v_dual_mul_f32 v45, 0x3dbcf732, v70
	s_delay_alu instid0(VALU_DEP_4) | instskip(SKIP_2) | instid1(VALU_DEP_4)
	v_fmamk_f32 v6, v83, 0xbf7ee86f, v57
	v_fmamk_f32 v5, v83, 0xbf65296c, v46
	v_dual_mul_f32 v48, 0xbf1a4643, v86 :: v_dual_sub_f32 v81, v37, v19
	v_fmamk_f32 v8, v69, 0xbf7ee86f, v45
	s_delay_alu instid0(VALU_DEP_4) | instskip(NEXT) | instid1(VALU_DEP_4)
	v_add_f32_e32 v6, v10, v6
	v_dual_add_f32 v5, v10, v5 :: v_dual_mul_f32 v84, 0x3ee437d1, v90
	v_dual_mul_f32 v52, 0xbe8c1d8e, v90 :: v_dual_sub_f32 v89, v33, v23
	s_delay_alu instid0(VALU_DEP_4) | instskip(SKIP_4) | instid1(VALU_DEP_4)
	v_add_f32_e32 v0, v0, v8
	v_fmamk_f32 v8, v69, 0xbf4c4adb, v47
	v_mul_f32_e32 v60, 0xbe8c1d8e, v67
	v_fmamk_f32 v55, v81, 0xbf65296c, v84
	v_dual_mul_f32 v71, 0x3f3d2fb0, v86 :: v_dual_add_f32 v94, v34, v20
	v_dual_add_f32 v5, v5, v8 :: v_dual_fmamk_f32 v8, v78, 0xbf4c4adb, v48
	v_dual_fmamk_f32 v49, v69, 0xbe3c28d5, v59 :: v_dual_add_f32 v96, v32, v22
	s_delay_alu instid0(VALU_DEP_3) | instskip(SKIP_1) | instid1(VALU_DEP_4)
	v_mul_f32_e32 v87, 0xbf7ba420, v94
	v_mul_f32_e32 v74, 0x3ee437d1, v86
	v_dual_add_f32 v0, v0, v8 :: v_dual_fmamk_f32 v7, v83, 0xbf763a35, v60
	s_delay_alu instid0(VALU_DEP_4) | instskip(SKIP_1) | instid1(VALU_DEP_3)
	v_dual_add_f32 v6, v6, v49 :: v_dual_mul_f32 v61, 0xbe8c1d8e, v86
	v_fmamk_f32 v53, v81, 0x3f763a35, v52
	v_dual_mul_f32 v50, 0xbf7ba420, v86 :: v_dual_add_f32 v7, v10, v7
	v_sub_f32_e32 v88, v35, v21
	s_delay_alu instid0(VALU_DEP_4) | instskip(SKIP_1) | instid1(VALU_DEP_4)
	v_fmamk_f32 v8, v78, 0x3f763a35, v61
	v_add_f32_e32 v97, v30, v24
	v_fmamk_f32 v49, v78, 0x3e3c28d5, v50
	s_delay_alu instid0(VALU_DEP_4) | instskip(NEXT) | instid1(VALU_DEP_4)
	v_dual_add_f32 v7, v7, v51 :: v_dual_fmamk_f32 v56, v88, 0xbe3c28d5, v87
	v_add_f32_e32 v6, v6, v8
	s_delay_alu instid0(VALU_DEP_4) | instskip(NEXT) | instid1(VALU_DEP_4)
	v_mul_f32_e32 v98, 0x3f6eb680, v97
	v_add_f32_e32 v5, v5, v49
	v_mul_f32_e32 v49, 0xbf7ba420, v90
	v_dual_mul_f32 v72, 0x3f6eb680, v67 :: v_dual_sub_f32 v93, v31, v25
	v_and_b32_e32 v9, 1, v9
	s_delay_alu instid0(VALU_DEP_4) | instskip(NEXT) | instid1(VALU_DEP_4)
	v_add_f32_e32 v5, v5, v53
	v_fmamk_f32 v8, v81, 0xbe3c28d5, v49
	v_fmamk_f32 v51, v78, 0x3f2c7751, v71
	v_sub_f32_e32 v99, v29, v27
	v_fmamk_f32 v80, v93, 0xbeb8f4ab, v98
	v_cmp_eq_u32_e64 s0, 1, v9
	s_delay_alu instid0(VALU_DEP_4) | instskip(SKIP_1) | instid1(VALU_DEP_2)
	v_dual_add_f32 v0, v0, v8 :: v_dual_add_f32 v7, v7, v51
	v_add_f32_e32 v85, v28, v26
	v_add_f32_e32 v7, v7, v55
	s_delay_alu instid0(VALU_DEP_2) | instskip(NEXT) | instid1(VALU_DEP_2)
	v_mul_f32_e32 v91, 0x3f3d2fb0, v85
	v_dual_add_f32 v7, v7, v56 :: v_dual_mul_f32 v58, 0x3ee437d1, v94
	v_mul_f32_e32 v56, 0x3ee437d1, v97
	s_delay_alu instid0(VALU_DEP_2) | instskip(SKIP_1) | instid1(VALU_DEP_3)
	v_fmamk_f32 v55, v88, 0xbf65296c, v58
	v_mul_f32_e32 v65, 0x3f6eb680, v90
	v_fmamk_f32 v66, v93, 0x3f65296c, v56
	s_delay_alu instid0(VALU_DEP_2) | instskip(NEXT) | instid1(VALU_DEP_1)
	v_fmamk_f32 v54, v81, 0x3eb8f4ab, v65
	v_add_f32_e32 v6, v6, v54
	s_delay_alu instid0(VALU_DEP_1) | instskip(NEXT) | instid1(VALU_DEP_1)
	v_dual_add_f32 v6, v6, v55 :: v_dual_mul_f32 v55, 0x3f6eb680, v96
	v_fmamk_f32 v63, v89, 0xbeb8f4ab, v55
	v_dual_mul_f32 v51, 0xbf59a7d5, v94 :: v_dual_mul_f32 v62, 0xbf59a7d5, v96
	v_mul_f32_e32 v54, 0x3f3d2fb0, v94
	v_mul_f32_e32 v53, 0xbe8c1d8e, v96
	;; [unrolled: 1-line block ×3, first 2 shown]
	s_delay_alu instid0(VALU_DEP_4) | instskip(SKIP_2) | instid1(VALU_DEP_3)
	v_fmamk_f32 v8, v88, 0x3f06c442, v51
	v_fmamk_f32 v64, v89, 0xbf06c442, v62
	v_mul_f32_e32 v82, 0xbf1a4643, v97
	v_add_f32_e32 v0, v0, v8
	v_fmamk_f32 v8, v88, 0x3f2c7751, v54
	s_delay_alu instid0(VALU_DEP_4) | instskip(NEXT) | instid1(VALU_DEP_2)
	v_add_f32_e32 v6, v6, v64
	v_add_f32_e32 v5, v5, v8
	v_fmamk_f32 v8, v89, 0x3f763a35, v53
	s_delay_alu instid0(VALU_DEP_1) | instskip(SKIP_2) | instid1(VALU_DEP_3)
	v_dual_add_f32 v5, v5, v63 :: v_dual_add_f32 v0, v0, v8
	v_mul_f32_e32 v63, 0x3dbcf732, v97
	v_fmamk_f32 v8, v89, 0x3f7ee86f, v92
	v_add_f32_e32 v0, v0, v66
	s_delay_alu instid0(VALU_DEP_3) | instskip(NEXT) | instid1(VALU_DEP_3)
	v_fmamk_f32 v76, v93, 0xbf7ee86f, v63
	v_dual_mul_f32 v66, 0xbf59a7d5, v85 :: v_dual_add_f32 v7, v7, v8
	v_fmamk_f32 v79, v78, 0xbf65296c, v74
	s_delay_alu instid0(VALU_DEP_3) | instskip(NEXT) | instid1(VALU_DEP_3)
	v_add_f32_e32 v5, v5, v76
	v_fmamk_f32 v101, v99, 0xbf06c442, v66
	v_fmamk_f32 v8, v83, 0xbeb8f4ab, v72
	v_add_f32_e32 v104, v7, v80
	v_mul_f32_e32 v76, 0xbe8c1d8e, v94
	v_mul_f32_e32 v80, 0xbf7ba420, v85
	v_add_f32_e32 v7, v5, v101
	v_dual_mul_f32 v73, 0x3f3d2fb0, v70 :: v_dual_add_f32 v8, v10, v8
	s_delay_alu instid0(VALU_DEP_1) | instskip(NEXT) | instid1(VALU_DEP_1)
	v_fmamk_f32 v64, v69, 0xbf2c7751, v73
	v_dual_fmamk_f32 v77, v93, 0x3f4c4adb, v82 :: v_dual_add_f32 v8, v8, v64
	v_mul_f32_e32 v75, 0x3dbcf732, v90
	v_mul_f32_e32 v64, 0x3f6eb680, v85
	s_delay_alu instid0(VALU_DEP_3) | instskip(NEXT) | instid1(VALU_DEP_3)
	v_dual_add_f32 v6, v6, v77 :: v_dual_mul_f32 v77, 0xbf1a4643, v96
	v_dual_add_f32 v8, v8, v79 :: v_dual_fmamk_f32 v79, v81, 0xbf7ee86f, v75
	s_delay_alu instid0(VALU_DEP_3) | instskip(SKIP_1) | instid1(VALU_DEP_3)
	v_fmamk_f32 v100, v99, 0x3eb8f4ab, v64
	v_mul_f32_e32 v95, 0xbf1a4643, v85
	v_dual_fmamk_f32 v103, v89, 0xbf4c4adb, v77 :: v_dual_add_f32 v8, v8, v79
	v_fmamk_f32 v79, v88, 0xbf763a35, v76
	s_delay_alu instid0(VALU_DEP_1) | instskip(SKIP_3) | instid1(VALU_DEP_4)
	v_add_f32_e32 v102, v8, v79
	v_add_f32_e32 v8, v0, v100
	v_fmamk_f32 v100, v99, 0x3f2c7751, v91
	v_mul_f32_e32 v79, 0xbf59a7d5, v97
	v_dual_fmamk_f32 v101, v99, 0xbf4c4adb, v95 :: v_dual_add_f32 v0, v102, v103
	s_wait_alu 0xf1ff
	v_cndmask_b32_e64 v103, 0, 0x52e, s0
	s_delay_alu instid0(VALU_DEP_3) | instskip(SKIP_1) | instid1(VALU_DEP_2)
	v_dual_add_f32 v6, v6, v100 :: v_dual_fmamk_f32 v5, v93, 0xbf06c442, v79
	v_fmamk_f32 v102, v99, 0xbe3c28d5, v80
	v_add_f32_e32 v0, v0, v5
	v_add_f32_e32 v5, v104, v101
	s_delay_alu instid0(VALU_DEP_2)
	v_dual_add_f32 v9, v0, v102 :: v_dual_lshlrev_b32 v0, 2, v103
	s_and_saveexec_b32 s0, s1
	s_cbranch_execz .LBB0_15
; %bb.14:
	v_mul_f32_e32 v100, 0xbe3c28d5, v83
	v_dual_mul_f32 v107, 0xbf06c442, v78 :: v_dual_mul_f32 v114, 0xbf06c442, v83
	v_mul_f32_e32 v108, 0x3f2c7751, v81
	v_mul_f32_e32 v110, 0xbf4c4adb, v88
	s_delay_alu instid0(VALU_DEP_3)
	v_fmamk_f32 v113, v86, 0xbf59a7d5, v107
	v_fma_f32 v107, 0xbf59a7d5, v86, -v107
	v_fmamk_f32 v105, v67, 0xbf7ba420, v100
	v_fmamk_f32 v115, v90, 0x3f3d2fb0, v108
	v_mul_f32_e32 v104, 0x3eb8f4ab, v69
	v_fmamk_f32 v116, v94, 0xbf1a4643, v110
	s_delay_alu instid0(VALU_DEP_4) | instskip(SKIP_1) | instid1(VALU_DEP_4)
	v_add_f32_e32 v105, v10, v105
	v_fma_f32 v100, 0xbf7ba420, v67, -v100
	v_fmamk_f32 v109, v70, 0x3f6eb680, v104
	v_mul_f32_e32 v102, 0xbf2c7751, v83
	s_delay_alu instid0(VALU_DEP_3) | instskip(NEXT) | instid1(VALU_DEP_3)
	v_dual_mul_f32 v101, 0xbeb8f4ab, v83 :: v_dual_add_f32 v100, v10, v100
	v_dual_add_f32 v105, v105, v109 :: v_dual_mul_f32 v106, 0xbf7ee86f, v83
	s_delay_alu instid0(VALU_DEP_1) | instskip(SKIP_1) | instid1(VALU_DEP_3)
	v_dual_sub_f32 v44, v44, v102 :: v_dual_add_f32 v105, v105, v113
	v_mul_f32_e32 v113, 0x3f65296c, v69
	v_dual_sub_f32 v57, v57, v106 :: v_dual_mul_f32 v106, 0xbf06c442, v89
	s_delay_alu instid0(VALU_DEP_3) | instskip(SKIP_2) | instid1(VALU_DEP_2)
	v_dual_add_f32 v44, v10, v44 :: v_dual_add_f32 v105, v105, v115
	v_fma_f32 v104, 0x3f6eb680, v70, -v104
	v_mul_f32_e32 v103, 0xbf65296c, v83
	v_dual_add_f32 v57, v10, v57 :: v_dual_add_f32 v100, v100, v104
	s_delay_alu instid0(VALU_DEP_4) | instskip(SKIP_1) | instid1(VALU_DEP_3)
	v_dual_add_f32 v104, v105, v116 :: v_dual_fmamk_f32 v105, v67, 0xbf59a7d5, v114
	v_fmamk_f32 v116, v70, 0x3ee437d1, v113
	v_dual_mul_f32 v111, 0x3f65296c, v89 :: v_dual_add_f32 v100, v100, v107
	v_mul_f32_e32 v107, 0xbf7ee86f, v78
	s_delay_alu instid0(VALU_DEP_4) | instskip(SKIP_3) | instid1(VALU_DEP_4)
	v_add_f32_e32 v105, v10, v105
	v_fma_f32 v110, 0xbf1a4643, v94, -v110
	v_fma_f32 v114, 0xbf59a7d5, v67, -v114
	v_dual_fmamk_f32 v115, v96, 0x3ee437d1, v111 :: v_dual_sub_f32 v46, v46, v103
	v_add_f32_e32 v105, v105, v116
	v_fma_f32 v108, 0x3f3d2fb0, v90, -v108
	s_delay_alu instid0(VALU_DEP_4) | instskip(NEXT) | instid1(VALU_DEP_4)
	v_add_f32_e32 v114, v10, v114
	v_add_f32_e32 v104, v104, v115
	;; [unrolled: 1-line block ×3, first 2 shown]
	s_delay_alu instid0(VALU_DEP_4) | instskip(SKIP_2) | instid1(VALU_DEP_2)
	v_add_f32_e32 v100, v100, v108
	v_fmamk_f32 v108, v86, 0x3dbcf732, v107
	v_mul_f32_e32 v112, 0xbf763a35, v93
	v_dual_add_f32 v100, v100, v110 :: v_dual_add_f32 v105, v105, v108
	v_fma_f32 v110, 0x3ee437d1, v96, -v111
	s_delay_alu instid0(VALU_DEP_3) | instskip(SKIP_1) | instid1(VALU_DEP_3)
	v_fmamk_f32 v117, v97, 0xbe8c1d8e, v112
	v_fma_f32 v112, 0xbe8c1d8e, v97, -v112
	v_dual_mul_f32 v111, 0xbeb8f4ab, v88 :: v_dual_add_f32 v100, v100, v110
	s_delay_alu instid0(VALU_DEP_3) | instskip(NEXT) | instid1(VALU_DEP_2)
	v_dual_mul_f32 v109, 0x3f7ee86f, v99 :: v_dual_add_f32 v104, v104, v117
	v_add_f32_e32 v100, v100, v112
	s_delay_alu instid0(VALU_DEP_2) | instskip(SKIP_1) | instid1(VALU_DEP_2)
	v_fmamk_f32 v116, v85, 0x3dbcf732, v109
	v_fma_f32 v109, 0x3dbcf732, v85, -v109
	v_add_f32_e32 v104, v104, v116
	v_mul_f32_e32 v116, 0xbf763a35, v83
	v_mul_f32_e32 v83, 0xbf4c4adb, v83
	v_fma_f32 v113, 0x3ee437d1, v70, -v113
	v_add_f32_e32 v100, v100, v109
	v_fma_f32 v107, 0x3dbcf732, v86, -v107
	s_delay_alu instid0(VALU_DEP_4) | instskip(NEXT) | instid1(VALU_DEP_4)
	v_fmamk_f32 v109, v67, 0xbf1a4643, v83
	v_add_f32_e32 v113, v114, v113
	v_mul_f32_e32 v114, 0x3f2c7751, v93
	v_fma_f32 v67, 0xbf1a4643, v67, -v83
	s_delay_alu instid0(VALU_DEP_4) | instskip(SKIP_4) | instid1(VALU_DEP_4)
	v_add_f32_e32 v109, v10, v109
	v_mul_f32_e32 v115, 0x3f4c4adb, v81
	v_add_f32_e32 v107, v113, v107
	v_mul_f32_e32 v113, 0xbf763a35, v99
	v_add_f32_e32 v67, v10, v67
	v_fmamk_f32 v108, v90, 0xbf1a4643, v115
	v_fma_f32 v115, 0xbf1a4643, v90, -v115
	s_delay_alu instid0(VALU_DEP_1) | instskip(NEXT) | instid1(VALU_DEP_3)
	v_add_f32_e32 v107, v107, v115
	v_dual_add_f32 v105, v105, v108 :: v_dual_fmamk_f32 v108, v94, 0x3f6eb680, v111
	v_fma_f32 v111, 0x3f6eb680, v94, -v111
	v_mul_f32_e32 v115, 0x3f763a35, v69
	s_delay_alu instid0(VALU_DEP_2) | instskip(NEXT) | instid1(VALU_DEP_4)
	v_add_f32_e32 v107, v107, v111
	v_dual_add_f32 v105, v105, v108 :: v_dual_mul_f32 v110, 0xbe3c28d5, v89
	s_delay_alu instid0(VALU_DEP_1) | instskip(NEXT) | instid1(VALU_DEP_1)
	v_fmamk_f32 v108, v96, 0xbf7ba420, v110
	v_add_f32_e32 v105, v105, v108
	v_fmamk_f32 v108, v97, 0x3f3d2fb0, v114
	s_delay_alu instid0(VALU_DEP_1) | instskip(SKIP_3) | instid1(VALU_DEP_3)
	v_add_f32_e32 v105, v105, v108
	v_fmamk_f32 v108, v85, 0xbe8c1d8e, v113
	v_dual_mul_f32 v111, 0xbeb8f4ab, v78 :: v_dual_sub_f32 v60, v60, v116
	v_mul_f32_e32 v83, 0xbf7ee86f, v69
	v_add_f32_e32 v105, v105, v108
	v_fma_f32 v108, 0xbf7ba420, v96, -v110
	s_delay_alu instid0(VALU_DEP_4)
	v_add_f32_e32 v60, v10, v60
	v_mul_f32_e32 v112, 0xbf2c7751, v69
	v_fmamk_f32 v110, v70, 0xbe8c1d8e, v115
	v_fma_f32 v114, 0x3f3d2fb0, v97, -v114
	v_add_f32_e32 v107, v107, v108
	v_fma_f32 v70, 0xbe8c1d8e, v70, -v115
	v_mul_f32_e32 v115, 0xbf06c442, v81
	v_sub_f32_e32 v45, v45, v83
	s_delay_alu instid0(VALU_DEP_4)
	v_add_f32_e32 v107, v107, v114
	v_mul_f32_e32 v114, 0xbf65296c, v78
	v_dual_add_f32 v108, v109, v110 :: v_dual_fmamk_f32 v109, v86, 0x3f6eb680, v111
	v_dual_mul_f32 v110, 0xbf4c4adb, v69 :: v_dual_add_f32 v67, v67, v70
	v_fma_f32 v86, 0x3f6eb680, v86, -v111
	v_add_f32_e32 v44, v44, v45
	s_delay_alu instid0(VALU_DEP_4)
	v_add_f32_e32 v108, v108, v109
	v_mul_f32_e32 v109, 0xbe3c28d5, v69
	v_mul_f32_e32 v69, 0x3f06c442, v69
	v_dual_add_f32 v67, v67, v86 :: v_dual_fmamk_f32 v70, v90, 0xbf59a7d5, v115
	v_fma_f32 v90, 0xbf59a7d5, v90, -v115
	v_mul_f32_e32 v115, 0xbf2c7751, v89
	s_delay_alu instid0(VALU_DEP_4)
	v_sub_f32_e32 v68, v68, v69
	v_mul_f32_e32 v69, 0x3eb8f4ab, v81
	v_sub_f32_e32 v47, v47, v110
	v_add_f32_e32 v67, v67, v90
	v_add_f32_e32 v70, v108, v70
	v_add_f32_e32 v60, v60, v68
	v_mul_f32_e32 v111, 0x3f7ee86f, v88
	v_fma_f32 v113, 0xbe8c1d8e, v85, -v113
	v_sub_f32_e32 v59, v59, v109
	v_dual_sub_f32 v65, v65, v69 :: v_dual_add_f32 v46, v46, v47
	s_delay_alu instid0(VALU_DEP_3)
	v_dual_fmamk_f32 v108, v94, 0x3dbcf732, v111 :: v_dual_add_f32 v107, v107, v113
	v_fma_f32 v94, 0x3dbcf732, v94, -v111
	v_fmamk_f32 v90, v96, 0x3f3d2fb0, v115
	v_mul_f32_e32 v113, 0xbf7ee86f, v81
	v_fma_f32 v96, 0x3f3d2fb0, v96, -v115
	v_mul_f32_e32 v115, 0x3f763a35, v81
	v_dual_add_f32 v67, v67, v94 :: v_dual_mul_f32 v94, 0xbe3c28d5, v81
	v_mul_f32_e32 v81, 0xbf65296c, v81
	v_mul_f32_e32 v86, 0xbf4c4adb, v78
	v_add_f32_e32 v70, v70, v108
	s_delay_alu instid0(VALU_DEP_4) | instskip(NEXT) | instid1(VALU_DEP_4)
	v_dual_add_f32 v67, v67, v96 :: v_dual_mul_f32 v108, 0x3e3c28d5, v78
	v_sub_f32_e32 v81, v84, v81
	v_mul_f32_e32 v111, 0x3f763a35, v78
	v_mul_f32_e32 v78, 0x3f2c7751, v78
	v_add_f32_e32 v70, v70, v90
	v_dual_mul_f32 v90, 0xbe3c28d5, v93 :: v_dual_add_f32 v57, v57, v59
	s_delay_alu instid0(VALU_DEP_3) | instskip(SKIP_1) | instid1(VALU_DEP_3)
	v_dual_mul_f32 v96, 0x3f06c442, v88 :: v_dual_sub_f32 v71, v71, v78
	v_mul_f32_e32 v78, 0xbf65296c, v88
	v_fmamk_f32 v116, v97, 0xbf7ba420, v90
	v_fma_f32 v90, 0xbf7ba420, v97, -v90
	s_delay_alu instid0(VALU_DEP_4) | instskip(SKIP_1) | instid1(VALU_DEP_4)
	v_dual_mul_f32 v97, 0xbf4c4adb, v89 :: v_dual_add_f32 v60, v60, v71
	v_dual_mul_f32 v59, 0x3f4c4adb, v93 :: v_dual_sub_f32 v50, v50, v108
	v_add_f32_e32 v70, v70, v116
	v_mul_f32_e32 v116, 0xbf763a35, v88
	s_delay_alu instid0(VALU_DEP_4) | instskip(SKIP_4) | instid1(VALU_DEP_4)
	v_add_f32_e32 v60, v60, v81
	v_dual_mul_f32 v68, 0x3f2c7751, v88 :: v_dual_sub_f32 v61, v61, v111
	v_dual_mul_f32 v88, 0xbe3c28d5, v88 :: v_dual_mul_f32 v111, 0xbe3c28d5, v99
	v_mul_f32_e32 v81, 0x3f65296c, v93
	v_mul_f32_e32 v84, 0xbeb8f4ab, v89
	v_add_f32_e32 v57, v57, v61
	v_mul_f32_e32 v109, 0xbf06c442, v93
	v_dual_sub_f32 v87, v87, v88 :: v_dual_mul_f32 v88, 0xbf7ee86f, v93
	v_add_f32_e32 v67, v67, v90
	v_dual_mul_f32 v93, 0xbeb8f4ab, v93 :: v_dual_add_f32 v46, v46, v50
	v_sub_f32_e32 v58, v58, v78
	v_dual_sub_f32 v50, v52, v115 :: v_dual_add_f32 v57, v57, v65
	v_dual_add_f32 v65, v10, v42 :: v_dual_add_f32 v60, v60, v87
	v_sub_f32_e32 v54, v54, v68
	v_sub_f32_e32 v93, v98, v93
	s_delay_alu instid0(VALU_DEP_4) | instskip(NEXT) | instid1(VALU_DEP_4)
	v_add_f32_e32 v57, v57, v58
	v_add_f32_e32 v65, v65, v40
	v_mul_f32_e32 v71, 0x3f763a35, v89
	v_dual_mul_f32 v89, 0x3f7ee86f, v89 :: v_dual_sub_f32 v58, v62, v106
	v_add_f32_e32 v46, v46, v50
	v_sub_f32_e32 v50, v73, v112
	s_delay_alu instid0(VALU_DEP_3) | instskip(NEXT) | instid1(VALU_DEP_4)
	v_dual_add_f32 v57, v57, v58 :: v_dual_sub_f32 v58, v82, v59
	v_sub_f32_e32 v89, v92, v89
	v_mul_f32_e32 v87, 0x3eb8f4ab, v99
	v_mul_f32_e32 v92, 0xbf06c442, v99
	v_add_f32_e32 v46, v46, v54
	s_delay_alu instid0(VALU_DEP_4) | instskip(SKIP_1) | instid1(VALU_DEP_1)
	v_dual_add_f32 v57, v57, v58 :: v_dual_add_f32 v60, v60, v89
	v_dual_mul_f32 v61, 0x3f65296c, v99 :: v_dual_sub_f32 v58, v72, v101
	v_dual_add_f32 v60, v60, v93 :: v_dual_fmamk_f32 v89, v85, 0x3ee437d1, v61
	s_delay_alu instid0(VALU_DEP_2) | instskip(SKIP_3) | instid1(VALU_DEP_4)
	v_add_f32_e32 v10, v10, v58
	v_dual_add_f32 v62, v65, v38 :: v_dual_mul_f32 v69, 0x3f2c7751, v99
	v_mul_f32_e32 v99, 0xbf4c4adb, v99
	v_fma_f32 v59, 0x3ee437d1, v85, -v61
	v_add_f32_e32 v10, v10, v50
	s_delay_alu instid0(VALU_DEP_4) | instskip(NEXT) | instid1(VALU_DEP_4)
	v_dual_add_f32 v47, v62, v36 :: v_dual_sub_f32 v50, v64, v87
	v_sub_f32_e32 v65, v95, v99
	s_delay_alu instid0(VALU_DEP_1) | instskip(SKIP_1) | instid1(VALU_DEP_2)
	v_dual_add_f32 v47, v47, v34 :: v_dual_add_f32 v60, v60, v65
	v_sub_f32_e32 v52, v91, v69
	v_add_f32_e32 v47, v47, v32
	s_delay_alu instid0(VALU_DEP_1) | instskip(NEXT) | instid1(VALU_DEP_1)
	v_add_f32_e32 v47, v47, v30
	v_add_f32_e32 v45, v47, v28
	v_sub_f32_e32 v47, v48, v86
	v_sub_f32_e32 v48, v74, v114
	s_delay_alu instid0(VALU_DEP_2) | instskip(NEXT) | instid1(VALU_DEP_2)
	v_add_f32_e32 v44, v44, v47
	v_add_f32_e32 v10, v10, v48
	v_sub_f32_e32 v48, v75, v113
	s_delay_alu instid0(VALU_DEP_1) | instskip(SKIP_2) | instid1(VALU_DEP_2)
	v_add_f32_e32 v10, v10, v48
	v_dual_sub_f32 v48, v76, v116 :: v_dual_sub_f32 v47, v49, v94
	v_sub_f32_e32 v49, v55, v84
	v_add_f32_e32 v10, v10, v48
	v_sub_f32_e32 v48, v77, v97
	s_delay_alu instid0(VALU_DEP_3) | instskip(SKIP_1) | instid1(VALU_DEP_3)
	v_dual_add_f32 v46, v46, v49 :: v_dual_sub_f32 v49, v63, v88
	v_dual_add_f32 v44, v44, v47 :: v_dual_sub_f32 v47, v51, v96
	v_add_f32_e32 v10, v10, v48
	v_sub_f32_e32 v48, v79, v109
	s_delay_alu instid0(VALU_DEP_4) | instskip(NEXT) | instid1(VALU_DEP_4)
	v_dual_add_f32 v46, v46, v49 :: v_dual_add_f32 v45, v45, v26
	v_add_f32_e32 v44, v44, v47
	s_delay_alu instid0(VALU_DEP_3) | instskip(SKIP_1) | instid1(VALU_DEP_4)
	v_dual_sub_f32 v47, v53, v71 :: v_dual_add_f32 v10, v10, v48
	v_mul_u32_u24_e32 v48, 0x44, v4
	v_add_f32_e32 v45, v24, v45
	s_delay_alu instid0(VALU_DEP_3) | instskip(SKIP_1) | instid1(VALU_DEP_1)
	v_add_f32_e32 v44, v44, v47
	v_sub_f32_e32 v47, v56, v81
	v_dual_add_f32 v45, v22, v45 :: v_dual_add_f32 v44, v44, v47
	v_sub_f32_e32 v49, v66, v92
	s_delay_alu instid0(VALU_DEP_2) | instskip(NEXT) | instid1(VALU_DEP_3)
	v_add_f32_e32 v45, v20, v45
	v_add_f32_e32 v44, v44, v50
	s_delay_alu instid0(VALU_DEP_3) | instskip(NEXT) | instid1(VALU_DEP_3)
	v_dual_sub_f32 v47, v80, v111 :: v_dual_add_f32 v46, v46, v49
	v_add_f32_e32 v45, v18, v45
	v_dual_add_f32 v49, v67, v59 :: v_dual_add_f32 v50, v70, v89
	s_delay_alu instid0(VALU_DEP_3) | instskip(SKIP_1) | instid1(VALU_DEP_4)
	v_add_f32_e32 v10, v10, v47
	v_add3_u32 v47, 0, v48, v0
	v_dual_add_f32 v45, v16, v45 :: v_dual_add_f32 v48, v57, v52
	s_delay_alu instid0(VALU_DEP_1) | instskip(NEXT) | instid1(VALU_DEP_1)
	v_add_f32_e32 v45, v14, v45
	v_add_f32_e32 v45, v12, v45
	ds_store_2addr_b32 v47, v45, v10 offset1:1
	ds_store_2addr_b32 v47, v44, v46 offset0:2 offset1:3
	ds_store_2addr_b32 v47, v48, v60 offset0:4 offset1:5
	;; [unrolled: 1-line block ×7, first 2 shown]
	ds_store_b32 v47, v9 offset:64
.LBB0_15:
	s_wait_alu 0xfffe
	s_or_b32 exec_lo, exec_lo, s0
	v_lshlrev_b32_e32 v10, 2, v4
	global_wb scope:SCOPE_SE
	s_wait_dscnt 0x0
	s_barrier_signal -1
	s_barrier_wait -1
	global_inv scope:SCOPE_SE
	v_add_nc_u32_e32 v62, 0, v10
	v_add3_u32 v59, 0, v0, v10
	v_cmp_gt_u32_e64 s0, 17, v4
	s_delay_alu instid0(VALU_DEP_3) | instskip(NEXT) | instid1(VALU_DEP_1)
	v_add_nc_u32_e32 v58, v62, v0
	v_add_nc_u32_e32 v46, 0x400, v58
	;; [unrolled: 1-line block ×5, first 2 shown]
	ds_load_2addr_b32 v[44:45], v58 offset0:102 offset1:221
	ds_load_2addr_b32 v[52:53], v46 offset0:67 offset1:186
	;; [unrolled: 1-line block ×5, first 2 shown]
	ds_load_b32 v60, v59
	ds_load_b32 v61, v58 offset:4828
	s_and_saveexec_b32 s2, s0
	s_cbranch_execz .LBB0_17
; %bb.16:
	v_add_nc_u32_e32 v5, 0x300, v58
	v_add_nc_u32_e32 v9, 0x1100, v58
	ds_load_2addr_b32 v[7:8], v10 offset0:6 offset1:227
	ds_load_2addr_b32 v[5:6], v5 offset0:12 offset1:233
	ds_load_2addr_b32 v[9:10], v9 offset1:221
.LBB0_17:
	s_wait_alu 0xfffe
	s_or_b32 exec_lo, exec_lo, s2
	v_sub_f32_e32 v73, v40, v14
	v_sub_f32_e32 v93, v42, v12
	;; [unrolled: 1-line block ×4, first 2 shown]
	v_add_f32_e32 v22, v33, v23
	v_dual_mul_f32 v90, 0xbf7ee86f, v73 :: v_dual_add_f32 v69, v41, v15
	v_mul_f32_e32 v100, 0xbf65296c, v93
	v_mul_f32_e32 v102, 0xbf763a35, v93
	;; [unrolled: 1-line block ×4, first 2 shown]
	v_dual_mul_f32 v98, 0xbf4c4adb, v73 :: v_dual_mul_f32 v71, 0xbf4c4adb, v32
	v_mul_f32_e32 v99, 0xbf2c7751, v93
	s_delay_alu instid0(VALU_DEP_4) | instskip(SKIP_1) | instid1(VALU_DEP_4)
	v_fma_f32 v55, 0x3f3d2fb0, v69, -v91
	v_add_f32_e32 v79, v43, v13
	v_fma_f32 v16, 0xbf1a4643, v69, -v98
	v_fma_f32 v56, 0x3dbcf732, v69, -v90
	v_mul_f32_e32 v72, 0x3f763a35, v32
	v_mul_f32_e32 v76, 0xbf06c442, v32
	v_fma_f32 v12, 0x3f6eb680, v79, -v103
	v_mul_f32_e32 v74, 0x3f7ee86f, v32
	global_wb scope:SCOPE_SE
	s_wait_dscnt 0x0
	s_barrier_signal -1
	s_barrier_wait -1
	v_add_f32_e32 v12, v11, v12
	global_inv scope:SCOPE_SE
	v_mul_f32_e32 v97, 0xbe3c28d5, v73
	v_dual_mul_f32 v75, 0xbeb8f4ab, v32 :: v_dual_add_f32 v12, v12, v55
	v_fma_f32 v40, 0x3ee437d1, v79, -v100
	v_mul_f32_e32 v101, 0xbf7ee86f, v93
	v_fma_f32 v54, 0xbe8c1d8e, v79, -v102
	v_fma_f32 v38, 0xbf7ba420, v69, -v97
	;; [unrolled: 1-line block ×3, first 2 shown]
	v_add_f32_e32 v40, v11, v40
	v_fma_f32 v42, 0x3dbcf732, v79, -v101
	v_add_f32_e32 v54, v11, v54
	s_delay_alu instid0(VALU_DEP_4) | instskip(NEXT) | instid1(VALU_DEP_3)
	v_add_f32_e32 v14, v11, v14
	v_add_f32_e32 v42, v11, v42
	s_delay_alu instid0(VALU_DEP_1) | instskip(SKIP_2) | instid1(VALU_DEP_2)
	v_add_f32_e32 v38, v42, v38
	v_sub_f32_e32 v42, v36, v18
	v_add_f32_e32 v16, v40, v16
	v_dual_add_f32 v40, v37, v19 :: v_dual_mul_f32 v89, 0x3f763a35, v42
	v_dual_add_f32 v68, v39, v17 :: v_dual_mul_f32 v95, 0x3e3c28d5, v70
	v_mul_f32_e32 v94, 0x3f763a35, v70
	v_mul_f32_e32 v87, 0xbf65296c, v42
	;; [unrolled: 1-line block ×4, first 2 shown]
	v_fma_f32 v18, 0xbf7ba420, v68, -v95
	v_fma_f32 v36, 0xbe8c1d8e, v68, -v94
	v_dual_add_f32 v14, v14, v56 :: v_dual_mul_f32 v85, 0xbf4c4adb, v70
	s_delay_alu instid0(VALU_DEP_3) | instskip(NEXT) | instid1(VALU_DEP_3)
	v_add_f32_e32 v16, v16, v18
	v_add_f32_e32 v18, v38, v36
	v_sub_f32_e32 v36, v34, v20
	v_mul_f32_e32 v96, 0x3f06c442, v73
	v_mul_f32_e32 v86, 0xbf65296c, v70
	v_add_f32_e32 v34, v35, v21
	v_fma_f32 v20, 0xbe8c1d8e, v40, -v89
	v_mul_f32_e32 v83, 0xbf65296c, v36
	v_mul_f32_e32 v77, 0x3f06c442, v36
	v_fma_f32 v55, 0xbf59a7d5, v69, -v96
	v_mul_f32_e32 v84, 0x3f2c7751, v36
	v_mul_f32_e32 v81, 0xbe3c28d5, v36
	v_add_f32_e32 v16, v16, v20
	v_fma_f32 v57, 0xbf1a4643, v68, -v85
	v_add_f32_e32 v54, v54, v55
	v_fma_f32 v55, 0x3f3d2fb0, v68, -v92
	v_fma_f32 v56, 0x3ee437d1, v68, -v86
	v_mul_f32_e32 v78, 0xbf763a35, v36
	s_delay_alu instid0(VALU_DEP_3) | instskip(SKIP_2) | instid1(VALU_DEP_2)
	v_add_f32_e32 v38, v54, v55
	v_fma_f32 v54, 0x3f6eb680, v40, -v88
	v_fma_f32 v55, 0x3ee437d1, v40, -v87
	v_add_f32_e32 v18, v18, v54
	s_delay_alu instid0(VALU_DEP_2) | instskip(SKIP_3) | instid1(VALU_DEP_3)
	v_add_f32_e32 v20, v38, v55
	v_fma_f32 v38, 0x3f3d2fb0, v34, -v84
	v_fma_f32 v54, 0x3ee437d1, v34, -v83
	;; [unrolled: 1-line block ×3, first 2 shown]
	v_add_f32_e32 v16, v16, v38
	s_delay_alu instid0(VALU_DEP_3) | instskip(NEXT) | instid1(VALU_DEP_3)
	v_add_f32_e32 v38, v18, v54
	v_add_f32_e32 v54, v20, v55
	v_sub_f32_e32 v20, v30, v24
	v_add_f32_e32 v14, v14, v57
	v_fma_f32 v18, 0xbe8c1d8e, v22, -v72
	v_fma_f32 v30, 0xbf59a7d5, v22, -v76
	;; [unrolled: 1-line block ×3, first 2 shown]
	v_mul_f32_e32 v63, 0xbf06c442, v20
	v_mul_f32_e32 v65, 0x3f65296c, v20
	;; [unrolled: 1-line block ×6, first 2 shown]
	v_add_f32_e32 v30, v38, v30
	v_fma_f32 v57, 0xbf7ba420, v40, -v80
	v_add_f32_e32 v38, v54, v55
	v_fma_f32 v24, 0x3f6eb680, v22, -v75
	v_mul_f32_e32 v66, 0xbf7ee86f, v20
	s_delay_alu instid0(VALU_DEP_4) | instskip(SKIP_1) | instid1(VALU_DEP_4)
	v_add_f32_e32 v14, v14, v57
	v_fma_f32 v57, 0xbf59a7d5, v34, -v77
	v_add_f32_e32 v24, v16, v24
	s_delay_alu instid0(VALU_DEP_2) | instskip(NEXT) | instid1(VALU_DEP_1)
	v_add_f32_e32 v14, v14, v57
	v_add_f32_e32 v14, v14, v18
	;; [unrolled: 1-line block ×3, first 2 shown]
	s_delay_alu instid0(VALU_DEP_1)
	v_fma_f32 v57, 0x3f6eb680, v18, -v64
	v_add_f32_e32 v12, v12, v56
	v_fma_f32 v56, 0x3dbcf732, v40, -v82
	v_fma_f32 v16, 0xbf59a7d5, v18, -v63
	;; [unrolled: 1-line block ×3, first 2 shown]
	v_add_f32_e32 v105, v38, v57
	v_fma_f32 v55, 0x3dbcf732, v18, -v66
	v_add_f32_e32 v12, v12, v56
	v_fma_f32 v56, 0xbe8c1d8e, v34, -v78
	v_add_f32_e32 v54, v14, v54
	v_add_f32_e32 v14, v29, v27
	;; [unrolled: 1-line block ×3, first 2 shown]
	s_delay_alu instid0(VALU_DEP_4) | instskip(SKIP_1) | instid1(VALU_DEP_1)
	v_add_f32_e32 v12, v12, v56
	v_fma_f32 v56, 0xbf1a4643, v22, -v71
	v_add_f32_e32 v12, v12, v56
	v_fma_f32 v56, 0xbf1a4643, v18, -v67
	s_delay_alu instid0(VALU_DEP_2) | instskip(SKIP_1) | instid1(VALU_DEP_3)
	v_add_f32_e32 v12, v12, v16
	v_sub_f32_e32 v16, v28, v26
	v_add_f32_e32 v104, v30, v56
	s_delay_alu instid0(VALU_DEP_2)
	v_mul_f32_e32 v38, 0xbe3c28d5, v16
	v_mul_f32_e32 v28, 0x3eb8f4ab, v16
	;; [unrolled: 1-line block ×5, first 2 shown]
	v_fma_f32 v56, 0xbf7ba420, v14, -v38
	v_fma_f32 v57, 0x3f6eb680, v14, -v28
	;; [unrolled: 1-line block ×5, first 2 shown]
	s_delay_alu instid0(VALU_DEP_4) | instskip(NEXT) | instid1(VALU_DEP_3)
	v_dual_add_f32 v12, v12, v56 :: v_dual_add_f32 v57, v54, v57
	v_dual_add_f32 v56, v55, v106 :: v_dual_add_f32 v55, v104, v107
	s_delay_alu instid0(VALU_DEP_3)
	v_add_f32_e32 v54, v105, v108
	s_and_saveexec_b32 s2, s1
	s_cbranch_execz .LBB0_19
; %bb.18:
	v_dual_add_f32 v43, v11, v43 :: v_dual_mul_f32 v108, 0x3f3d2fb0, v69
	v_mul_f32_e32 v104, 0x3f6eb680, v79
	v_dual_mul_f32 v107, 0x3dbcf732, v79 :: v_dual_mul_f32 v116, 0x3dbcf732, v40
	s_delay_alu instid0(VALU_DEP_3) | instskip(SKIP_3) | instid1(VALU_DEP_4)
	v_add_f32_e32 v41, v43, v41
	v_mul_f32_e32 v110, 0xbf1a4643, v69
	v_mul_f32_e32 v105, 0x3f3d2fb0, v79
	v_dual_mul_f32 v43, 0xbe8c1d8e, v79 :: v_dual_mul_f32 v114, 0xbe8c1d8e, v68
	v_add_f32_e32 v39, v41, v39
	v_mul_f32_e32 v106, 0x3ee437d1, v79
	v_mul_f32_e32 v135, 0xbf06c442, v93
	v_add_f32_e32 v103, v104, v103
	v_dual_mul_f32 v109, 0x3dbcf732, v69 :: v_dual_mul_f32 v126, 0x3dbcf732, v22
	v_dual_add_f32 v37, v39, v37 :: v_dual_mul_f32 v112, 0x3ee437d1, v68
	v_add_f32_e32 v43, v43, v102
	v_fma_f32 v102, 0xbf59a7d5, v79, -v135
	v_add_f32_e32 v103, v11, v103
	s_delay_alu instid0(VALU_DEP_4) | instskip(SKIP_3) | instid1(VALU_DEP_4)
	v_dual_add_f32 v35, v37, v35 :: v_dual_mul_f32 v118, 0x3f6eb680, v40
	v_add_f32_e32 v91, v108, v91
	v_mul_f32_e32 v41, 0xbf7ba420, v69
	v_dual_mul_f32 v111, 0xbf59a7d5, v69 :: v_dual_mul_f32 v120, 0xbf59a7d5, v34
	v_add_f32_e32 v33, v35, v33
	v_dual_mul_f32 v113, 0xbf1a4643, v68 :: v_dual_mul_f32 v134, 0xbf1a4643, v14
	v_dual_mul_f32 v128, 0x3ee437d1, v18 :: v_dual_add_f32 v43, v11, v43
	s_delay_alu instid0(VALU_DEP_3) | instskip(SKIP_2) | instid1(VALU_DEP_3)
	v_add_f32_e32 v31, v33, v31
	v_mul_f32_e32 v39, 0xbf7ba420, v68
	v_dual_mul_f32 v117, 0xbe8c1d8e, v40 :: v_dual_mul_f32 v124, 0xbe8c1d8e, v22
	v_dual_mul_f32 v130, 0x3f6eb680, v18 :: v_dual_add_f32 v29, v31, v29
	v_mul_f32_e32 v37, 0xbf7ba420, v40
	v_dual_mul_f32 v119, 0x3ee437d1, v40 :: v_dual_mul_f32 v122, 0x3ee437d1, v34
	s_delay_alu instid0(VALU_DEP_3) | instskip(NEXT) | instid1(VALU_DEP_1)
	v_dual_mul_f32 v132, 0xbf59a7d5, v14 :: v_dual_add_f32 v27, v29, v27
	v_add_f32_e32 v25, v25, v27
	s_delay_alu instid0(VALU_DEP_1) | instskip(SKIP_2) | instid1(VALU_DEP_3)
	v_add_f32_e32 v23, v23, v25
	v_mul_f32_e32 v25, 0xbf4c4adb, v93
	v_mul_f32_e32 v93, 0xbe3c28d5, v93
	v_add_f32_e32 v21, v21, v23
	v_add_f32_e32 v23, v105, v99
	v_dual_add_f32 v99, v106, v100 :: v_dual_add_f32 v100, v107, v101
	v_fmamk_f32 v101, v79, 0xbf59a7d5, v135
	s_delay_alu instid0(VALU_DEP_4)
	v_add_f32_e32 v19, v19, v21
	v_fmamk_f32 v21, v79, 0xbf1a4643, v25
	v_fma_f32 v25, 0xbf1a4643, v79, -v25
	v_add_f32_e32 v23, v11, v23
	v_add_f32_e32 v99, v11, v99
	;; [unrolled: 1-line block ×3, first 2 shown]
	v_fmamk_f32 v19, v79, 0xbf7ba420, v93
	v_add_f32_e32 v21, v11, v21
	v_add_f32_e32 v25, v11, v25
	s_delay_alu instid0(VALU_DEP_4) | instskip(SKIP_2) | instid1(VALU_DEP_3)
	v_add_f32_e32 v15, v15, v17
	v_add_f32_e32 v17, v11, v100
	;; [unrolled: 1-line block ×4, first 2 shown]
	v_fma_f32 v15, 0xbf7ba420, v79, -v93
	v_add_f32_e32 v79, v11, v101
	v_add_f32_e32 v93, v11, v102
	s_delay_alu instid0(VALU_DEP_3) | instskip(SKIP_4) | instid1(VALU_DEP_4)
	v_add_f32_e32 v11, v11, v15
	v_dual_add_f32 v15, v109, v90 :: v_dual_add_f32 v90, v103, v91
	v_add_f32_e32 v41, v41, v97
	v_mul_f32_e32 v97, 0x3f763a35, v73
	v_add_f32_e32 v91, v110, v98
	v_add_f32_e32 v15, v23, v15
	;; [unrolled: 1-line block ×4, first 2 shown]
	v_fmamk_f32 v41, v69, 0xbe8c1d8e, v97
	v_mul_f32_e32 v96, 0x3f65296c, v73
	v_mul_f32_e32 v73, 0x3eb8f4ab, v73
	v_add_f32_e32 v23, v43, v23
	v_fma_f32 v43, 0xbe8c1d8e, v69, -v97
	v_add_f32_e32 v21, v21, v41
	v_fmamk_f32 v41, v69, 0x3ee437d1, v96
	v_fma_f32 v96, 0x3ee437d1, v69, -v96
	v_add_f32_e32 v91, v99, v91
	v_add_f32_e32 v25, v25, v43
	v_fmamk_f32 v43, v69, 0x3f6eb680, v73
	v_fma_f32 v69, 0x3f6eb680, v69, -v73
	v_add_f32_e32 v41, v79, v41
	v_add_f32_e32 v79, v112, v86
	s_delay_alu instid0(VALU_DEP_4) | instskip(NEXT) | instid1(VALU_DEP_4)
	v_dual_mul_f32 v86, 0xbf7ee86f, v70 :: v_dual_add_f32 v19, v19, v43
	v_add_f32_e32 v11, v11, v69
	v_add_f32_e32 v43, v113, v85
	s_delay_alu instid0(VALU_DEP_4)
	v_add_f32_e32 v69, v90, v79
	v_add_f32_e32 v79, v114, v94
	v_mul_f32_e32 v85, 0xbeb8f4ab, v70
	v_add_f32_e32 v73, v93, v96
	v_add_f32_e32 v15, v15, v43
	v_mul_f32_e32 v29, 0x3dbcf732, v18
	v_add_f32_e32 v17, v17, v79
	v_fmamk_f32 v79, v68, 0x3f6eb680, v85
	v_fma_f32 v85, 0x3f6eb680, v68, -v85
	s_delay_alu instid0(VALU_DEP_2) | instskip(SKIP_2) | instid1(VALU_DEP_4)
	v_add_f32_e32 v21, v21, v79
	v_fma_f32 v79, 0x3dbcf732, v68, -v86
	v_mul_f32_e32 v115, 0x3f3d2fb0, v68
	v_add_f32_e32 v25, v25, v85
	s_delay_alu instid0(VALU_DEP_2) | instskip(NEXT) | instid1(VALU_DEP_1)
	v_add_f32_e32 v43, v115, v92
	v_add_f32_e32 v23, v23, v43
	v_mul_f32_e32 v43, 0xbf06c442, v70
	v_dual_fmamk_f32 v70, v68, 0x3dbcf732, v86 :: v_dual_add_f32 v29, v29, v66
	s_delay_alu instid0(VALU_DEP_2) | instskip(SKIP_2) | instid1(VALU_DEP_4)
	v_fmamk_f32 v85, v68, 0xbf59a7d5, v43
	v_fma_f32 v43, 0xbf59a7d5, v68, -v43
	v_dual_add_f32 v68, v116, v82 :: v_dual_add_f32 v39, v39, v95
	v_add_f32_e32 v41, v41, v70
	v_add_f32_e32 v70, v73, v79
	s_delay_alu instid0(VALU_DEP_4) | instskip(NEXT) | instid1(VALU_DEP_4)
	v_add_f32_e32 v11, v11, v43
	v_add_f32_e32 v43, v69, v68
	v_dual_add_f32 v39, v91, v39 :: v_dual_add_f32 v68, v117, v89
	v_add_f32_e32 v37, v37, v80
	v_add_f32_e32 v69, v118, v88
	v_mul_f32_e32 v73, 0xbf06c442, v42
	v_mul_f32_e32 v31, 0xbf59a7d5, v22
	v_add_f32_e32 v39, v39, v68
	v_add_f32_e32 v15, v15, v37
	s_delay_alu instid0(VALU_DEP_4) | instskip(SKIP_3) | instid1(VALU_DEP_4)
	v_dual_add_f32 v37, v119, v87 :: v_dual_fmamk_f32 v68, v40, 0xbf59a7d5, v73
	v_add_f32_e32 v17, v17, v69
	v_mul_f32_e32 v69, 0x3f4c4adb, v42
	v_mul_f32_e32 v123, 0xbf1a4643, v22
	v_add_f32_e32 v23, v23, v37
	v_fma_f32 v37, 0xbf59a7d5, v40, -v73
	v_dual_mul_f32 v42, 0x3f2c7751, v42 :: v_dual_add_f32 v21, v21, v68
	v_dual_fmamk_f32 v68, v40, 0xbf1a4643, v69 :: v_dual_add_f32 v19, v19, v85
	v_fma_f32 v69, 0xbf1a4643, v40, -v69
	s_delay_alu instid0(VALU_DEP_4) | instskip(NEXT) | instid1(VALU_DEP_4)
	v_add_f32_e32 v25, v25, v37
	v_fmamk_f32 v37, v40, 0x3f3d2fb0, v42
	v_fma_f32 v40, 0x3f3d2fb0, v40, -v42
	v_add_f32_e32 v41, v41, v68
	v_mul_f32_e32 v121, 0x3f3d2fb0, v34
	v_mul_f32_e32 v33, 0xbf7ba420, v34
	v_dual_mul_f32 v35, 0xbe8c1d8e, v34 :: v_dual_add_f32 v42, v70, v69
	v_add_f32_e32 v19, v19, v37
	v_add_f32_e32 v11, v11, v40
	v_dual_add_f32 v37, v120, v77 :: v_dual_add_f32 v40, v121, v84
	v_dual_mul_f32 v68, 0x3f7ee86f, v36 :: v_dual_add_f32 v33, v33, v81
	v_add_f32_e32 v35, v35, v78
	s_delay_alu instid0(VALU_DEP_3) | instskip(NEXT) | instid1(VALU_DEP_4)
	v_add_f32_e32 v15, v15, v37
	v_add_f32_e32 v37, v39, v40
	v_mul_f32_e32 v40, 0xbeb8f4ab, v36
	v_fmamk_f32 v39, v34, 0x3dbcf732, v68
	v_add_f32_e32 v23, v23, v33
	v_mul_f32_e32 v33, 0xbf4c4adb, v36
	s_delay_alu instid0(VALU_DEP_4)
	v_dual_mul_f32 v125, 0x3f6eb680, v22 :: v_dual_fmamk_f32 v36, v34, 0x3f6eb680, v40
	v_add_f32_e32 v35, v43, v35
	v_add_f32_e32 v43, v122, v83
	v_mul_f32_e32 v129, 0xbf1a4643, v18
	v_add_f32_e32 v21, v21, v39
	v_fma_f32 v39, 0x3f6eb680, v34, -v40
	v_fmamk_f32 v40, v34, 0xbf1a4643, v33
	v_fma_f32 v33, 0xbf1a4643, v34, -v33
	v_mul_f32_e32 v127, 0xbf59a7d5, v18
	v_add_f32_e32 v17, v17, v43
	v_fma_f32 v43, 0x3dbcf732, v34, -v68
	v_add_f32_e32 v34, v41, v36
	v_add_f32_e32 v36, v123, v71
	;; [unrolled: 1-line block ×4, first 2 shown]
	v_mul_f32_e32 v131, 0xbf7ba420, v14
	v_add_f32_e32 v19, v19, v40
	v_dual_add_f32 v35, v35, v36 :: v_dual_add_f32 v36, v125, v75
	v_add_f32_e32 v31, v31, v76
	v_dual_mul_f32 v40, 0xbf2c7751, v32 :: v_dual_add_f32 v15, v15, v33
	v_add_f32_e32 v33, v126, v74
	s_delay_alu instid0(VALU_DEP_4) | instskip(NEXT) | instid1(VALU_DEP_4)
	v_dual_mul_f32 v27, 0x3f6eb680, v14 :: v_dual_add_f32 v36, v37, v36
	v_add_f32_e32 v17, v17, v31
	s_delay_alu instid0(VALU_DEP_4)
	v_fmamk_f32 v31, v22, 0x3f3d2fb0, v40
	v_mul_f32_e32 v37, 0xbe3c28d5, v32
	v_add_f32_e32 v25, v25, v43
	v_add_f32_e32 v23, v23, v33
	v_fma_f32 v33, 0x3f3d2fb0, v22, -v40
	v_dual_mul_f32 v32, 0x3f65296c, v32 :: v_dual_add_f32 v21, v21, v31
	v_fmamk_f32 v31, v22, 0xbf7ba420, v37
	v_fma_f32 v37, 0xbf7ba420, v22, -v37
	s_delay_alu instid0(VALU_DEP_4) | instskip(NEXT) | instid1(VALU_DEP_4)
	v_add_f32_e32 v25, v25, v33
	v_fmamk_f32 v33, v22, 0x3ee437d1, v32
	v_fma_f32 v22, 0x3ee437d1, v22, -v32
	v_add_f32_e32 v31, v34, v31
	v_add_f32_e32 v34, v127, v63
	;; [unrolled: 1-line block ×4, first 2 shown]
	v_dual_add_f32 v11, v11, v22 :: v_dual_add_f32 v22, v128, v65
	s_delay_alu instid0(VALU_DEP_4) | instskip(SKIP_2) | instid1(VALU_DEP_4)
	v_dual_add_f32 v33, v35, v34 :: v_dual_add_f32 v34, v129, v67
	v_mul_f32_e32 v35, 0xbe3c28d5, v20
	v_dual_mul_f32 v133, 0x3f3d2fb0, v14 :: v_dual_add_f32 v32, v39, v37
	v_dual_add_f32 v15, v15, v22 :: v_dual_add_f32 v22, v36, v29
	v_add_f32_e32 v29, v130, v64
	v_dual_mul_f32 v36, 0x3f2c7751, v20 :: v_dual_add_f32 v17, v17, v34
	v_fmamk_f32 v34, v18, 0xbf7ba420, v35
	v_fma_f32 v35, 0xbf7ba420, v18, -v35
	s_delay_alu instid0(VALU_DEP_4) | instskip(NEXT) | instid1(VALU_DEP_4)
	v_dual_mul_f32 v20, 0xbf763a35, v20 :: v_dual_add_f32 v23, v23, v29
	v_fmamk_f32 v29, v18, 0x3f3d2fb0, v36
	s_delay_alu instid0(VALU_DEP_4) | instskip(NEXT) | instid1(VALU_DEP_4)
	v_add_f32_e32 v21, v21, v34
	v_add_f32_e32 v25, v25, v35
	v_fma_f32 v34, 0x3f3d2fb0, v18, -v36
	v_fmamk_f32 v35, v18, 0xbe8c1d8e, v20
	v_fma_f32 v18, 0xbe8c1d8e, v18, -v20
	v_add_f32_e32 v20, v31, v29
	v_dual_add_f32 v29, v131, v38 :: v_dual_add_f32 v24, v133, v24
	s_delay_alu instid0(VALU_DEP_4) | instskip(NEXT) | instid1(VALU_DEP_4)
	v_add_f32_e32 v19, v19, v35
	v_add_f32_e32 v11, v11, v18
	s_delay_alu instid0(VALU_DEP_3) | instskip(SKIP_2) | instid1(VALU_DEP_3)
	v_dual_add_f32 v18, v27, v28 :: v_dual_add_f32 v27, v33, v29
	v_mul_f32_e32 v29, 0x3f65296c, v16
	v_dual_add_f32 v17, v17, v24 :: v_dual_add_f32 v28, v132, v30
	v_add_f32_e32 v15, v15, v18
	v_add_f32_e32 v18, v134, v26
	s_delay_alu instid0(VALU_DEP_4) | instskip(SKIP_2) | instid1(VALU_DEP_4)
	v_fma_f32 v24, 0x3ee437d1, v14, -v29
	v_fmamk_f32 v26, v14, 0x3ee437d1, v29
	v_dual_add_f32 v22, v22, v28 :: v_dual_add_f32 v31, v32, v34
	v_dual_add_f32 v18, v23, v18 :: v_dual_mul_f32 v23, 0xbf763a35, v16
	v_mul_f32_e32 v16, 0x3f7ee86f, v16
	v_add_f32_e32 v24, v25, v24
	v_lshlrev_b32_e32 v25, 6, v4
	s_delay_alu instid0(VALU_DEP_4) | instskip(SKIP_4) | instid1(VALU_DEP_4)
	v_dual_add_f32 v21, v21, v26 :: v_dual_fmamk_f32 v26, v14, 0xbe8c1d8e, v23
	v_fma_f32 v23, 0xbe8c1d8e, v14, -v23
	v_fmamk_f32 v28, v14, 0x3dbcf732, v16
	v_fma_f32 v14, 0x3dbcf732, v14, -v16
	v_add3_u32 v16, v62, v25, v0
	v_dual_add_f32 v20, v20, v26 :: v_dual_add_f32 v23, v31, v23
	s_delay_alu instid0(VALU_DEP_4) | instskip(NEXT) | instid1(VALU_DEP_4)
	v_add_f32_e32 v19, v19, v28
	v_add_f32_e32 v11, v11, v14
	ds_store_2addr_b32 v16, v13, v27 offset1:1
	ds_store_2addr_b32 v16, v15, v22 offset0:2 offset1:3
	ds_store_2addr_b32 v16, v17, v18 offset0:4 offset1:5
	ds_store_2addr_b32 v16, v21, v20 offset0:6 offset1:7
	ds_store_2addr_b32 v16, v19, v11 offset0:8 offset1:9
	ds_store_2addr_b32 v16, v23, v24 offset0:10 offset1:11
	ds_store_2addr_b32 v16, v54, v55 offset0:12 offset1:13
	ds_store_2addr_b32 v16, v56, v57 offset0:14 offset1:15
	ds_store_b32 v16, v12 offset:64
.LBB0_19:
	s_wait_alu 0xfffe
	s_or_b32 exec_lo, exec_lo, s2
	v_add_nc_u32_e32 v11, 0x400, v58
	v_add_nc_u32_e32 v16, 0x800, v58
	v_add_nc_u32_e32 v13, 0xa00, v58
	v_add_nc_u32_e32 v17, 0xe00, v58
	global_wb scope:SCOPE_SE
	s_wait_dscnt 0x0
	s_barrier_signal -1
	s_barrier_wait -1
	global_inv scope:SCOPE_SE
	ds_load_2addr_b32 v[14:15], v58 offset0:102 offset1:221
	ds_load_2addr_b32 v[22:23], v11 offset0:67 offset1:186
	;; [unrolled: 1-line block ×5, first 2 shown]
	ds_load_b32 v24, v59
	ds_load_b32 v11, v58 offset:4828
	s_and_saveexec_b32 s1, s0
	s_cbranch_execz .LBB0_21
; %bb.20:
	v_add_nc_u32_e32 v12, 0x300, v58
	v_add_nc_u32_e32 v25, 0x1100, v58
	ds_load_2addr_b32 v[56:57], v13 offset0:6 offset1:227
	ds_load_2addr_b32 v[54:55], v12 offset0:12 offset1:233
	ds_load_2addr_b32 v[12:13], v25 offset1:221
.LBB0_21:
	s_wait_alu 0xfffe
	s_or_b32 exec_lo, exec_lo, s1
	v_and_b32_e32 v25, 0xff, v4
	v_add_nc_u16 v26, v4, 0x66
	v_add_nc_u32_e32 v36, 0xcc, v4
	s_delay_alu instid0(VALU_DEP_3) | instskip(NEXT) | instid1(VALU_DEP_3)
	v_mul_lo_u16 v25, 0xf1, v25
	v_and_b32_e32 v28, 0xff, v26
	s_delay_alu instid0(VALU_DEP_3) | instskip(NEXT) | instid1(VALU_DEP_3)
	v_and_b32_e32 v29, 0xffff, v36
	v_lshrrev_b16 v25, 12, v25
	s_delay_alu instid0(VALU_DEP_3) | instskip(NEXT) | instid1(VALU_DEP_3)
	v_mul_lo_u16 v28, 0xf1, v28
	v_mul_u32_u24_e32 v29, 0xf0f1, v29
	s_delay_alu instid0(VALU_DEP_3) | instskip(NEXT) | instid1(VALU_DEP_3)
	v_mul_lo_u16 v27, v25, 17
	v_lshrrev_b16 v37, 12, v28
	s_delay_alu instid0(VALU_DEP_3) | instskip(NEXT) | instid1(VALU_DEP_3)
	v_lshrrev_b32_e32 v39, 20, v29
	v_sub_nc_u16 v27, v4, v27
	s_delay_alu instid0(VALU_DEP_3) | instskip(NEXT) | instid1(VALU_DEP_3)
	v_mul_lo_u16 v30, v37, 17
	v_mul_lo_u16 v39, v39, 17
	s_delay_alu instid0(VALU_DEP_3) | instskip(NEXT) | instid1(VALU_DEP_3)
	v_and_b32_e32 v27, 0xff, v27
	v_sub_nc_u16 v26, v26, v30
	s_delay_alu instid0(VALU_DEP_2) | instskip(NEXT) | instid1(VALU_DEP_1)
	v_mul_u32_u24_e32 v28, 5, v27
	v_lshlrev_b32_e32 v38, 3, v28
	s_clause 0x1
	global_load_b128 v[28:31], v38, s[4:5]
	global_load_b128 v[32:35], v38, s[4:5] offset:16
	v_and_b32_e32 v26, 0xff, v26
	global_load_b64 v[78:79], v38, s[4:5] offset:32
	v_and_b32_e32 v25, 0xffff, v25
	v_mul_u32_u24_e32 v38, 5, v26
	s_delay_alu instid0(VALU_DEP_2) | instskip(NEXT) | instid1(VALU_DEP_2)
	v_mad_u32_u24 v25, 0x198, v25, 0
	v_lshlrev_b32_e32 v38, 3, v38
	s_clause 0x1
	global_load_b128 v[62:65], v38, s[4:5]
	global_load_b128 v[66:69], v38, s[4:5] offset:16
	s_wait_loadcnt 0x4
	v_mul_f32_e32 v43, v53, v31
	v_sub_nc_u16 v36, v36, v39
	v_mul_f32_e32 v40, v45, v29
	s_wait_loadcnt 0x3
	v_mul_f32_e32 v42, v51, v33
	v_and_b32_e32 v37, 0xffff, v37
	v_lshlrev_b32_e32 v27, 2, v27
	s_wait_dscnt 0x5
	v_dual_fmac_f32 v43, v23, v30 :: v_dual_and_b32 v36, 0xffff, v36
	s_wait_dscnt 0x4
	v_fmac_f32_e32 v42, v21, v32
	v_mad_u32_u24 v37, 0x198, v37, 0
	v_fmac_f32_e32 v40, v15, v28
	v_mul_u32_u24_e32 v39, 5, v36
	s_delay_alu instid0(VALU_DEP_1)
	v_lshlrev_b32_e32 v39, 3, v39
	s_clause 0x3
	global_load_b64 v[80:81], v38, s[4:5] offset:32
	global_load_b128 v[70:73], v39, s[4:5]
	global_load_b128 v[74:77], v39, s[4:5] offset:16
	global_load_b64 v[82:83], v39, s[4:5] offset:32
	v_lshlrev_b32_e32 v38, 2, v26
	v_add3_u32 v26, v25, v27, v0
	v_dual_mul_f32 v36, v15, v29 :: v_dual_lshlrev_b32 v25, 2, v36
	v_mul_f32_e32 v29, v23, v31
	v_mul_f32_e32 v31, v21, v33
	s_wait_dscnt 0x3
	v_mul_f32_e32 v33, v19, v35
	s_wait_loadcnt 0x5
	v_mul_f32_e32 v15, v52, v63
	v_add3_u32 v27, v37, v38, v0
	v_mul_f32_e32 v38, v49, v35
	s_wait_dscnt 0x2
	v_mul_f32_e32 v35, v17, v79
	v_mul_f32_e32 v39, v47, v79
	v_fma_f32 v31, v51, v32, -v31
	v_fma_f32 v49, v49, v34, -v33
	v_fmac_f32_e32 v38, v19, v34
	v_fma_f32 v32, v47, v78, -v35
	s_wait_loadcnt 0x4
	v_mul_f32_e32 v34, v48, v67
	v_mul_f32_e32 v35, v20, v65
	v_fma_f32 v36, v45, v28, -v36
	v_fma_f32 v53, v53, v30, -v29
	v_dual_fmac_f32 v39, v17, v78 :: v_dual_mul_f32 v30, v22, v63
	v_mul_f32_e32 v41, v18, v67
	v_mul_f32_e32 v47, v16, v69
	;; [unrolled: 1-line block ×3, first 2 shown]
	v_fmac_f32_e32 v34, v18, v66
	v_fma_f32 v45, v50, v64, -v35
	v_fma_f32 v30, v52, v62, -v30
	global_wb scope:SCOPE_SE
	s_wait_loadcnt_dscnt 0x0
	s_barrier_signal -1
	s_barrier_wait -1
	global_inv scope:SCOPE_SE
	v_mul_f32_e32 v63, v55, v71
	v_mul_f32_e32 v23, v6, v71
	;; [unrolled: 1-line block ×3, first 2 shown]
	v_dual_mul_f32 v28, v8, v75 :: v_dual_mul_f32 v37, v50, v65
	v_mul_f32_e32 v19, v9, v77
	v_mul_f32_e32 v71, v13, v83
	s_delay_alu instid0(VALU_DEP_3) | instskip(NEXT) | instid1(VALU_DEP_4)
	v_dual_mul_f32 v69, v12, v77 :: v_dual_fmac_f32 v28, v57, v74
	v_fmac_f32_e32 v37, v20, v64
	v_mul_f32_e32 v21, v10, v83
	v_fmac_f32_e32 v19, v12, v76
	v_fma_f32 v12, v10, v82, -v71
	v_dual_add_f32 v10, v31, v32 :: v_dual_mul_f32 v17, v61, v81
	v_fma_f32 v18, v46, v68, -v47
	v_fma_f32 v46, v8, v74, -v67
	v_add_f32_e32 v8, v36, v31
	s_delay_alu instid0(VALU_DEP_4)
	v_dual_fmac_f32 v36, -0.5, v10 :: v_dual_fmac_f32 v33, v16, v68
	v_fma_f32 v16, v6, v70, -v63
	v_add_f32_e32 v6, v60, v53
	v_fma_f32 v35, v48, v66, -v41
	v_mul_f32_e32 v65, v56, v73
	v_mul_f32_e32 v29, v7, v73
	v_add_f32_e32 v47, v45, v18
	s_delay_alu instid0(VALU_DEP_4) | instskip(NEXT) | instid1(VALU_DEP_4)
	v_dual_fmac_f32 v17, v11, v80 :: v_dual_add_f32 v50, v30, v35
	v_fma_f32 v20, v7, v72, -v65
	v_add_f32_e32 v7, v53, v49
	v_mul_f32_e32 v51, v11, v81
	v_add_f32_e32 v11, v42, v39
	v_dual_sub_f32 v31, v31, v32 :: v_dual_add_f32 v6, v6, v49
	s_delay_alu instid0(VALU_DEP_4) | instskip(NEXT) | instid1(VALU_DEP_4)
	v_fmac_f32_e32 v60, -0.5, v7
	v_fma_f32 v41, v61, v80, -v51
	v_add_f32_e32 v7, v8, v32
	v_fma_f32 v8, -0.5, v11, v40
	v_add_f32_e32 v32, v44, v45
	s_delay_alu instid0(VALU_DEP_4) | instskip(NEXT) | instid1(VALU_DEP_4)
	v_dual_fmac_f32 v44, -0.5, v47 :: v_dual_add_f32 v51, v35, v41
	v_sub_f32_e32 v64, v6, v7
	s_delay_alu instid0(VALU_DEP_4) | instskip(SKIP_4) | instid1(VALU_DEP_3)
	v_fmamk_f32 v10, v31, 0xbf5db3d7, v8
	v_fmac_f32_e32 v8, 0x3f5db3d7, v31
	v_dual_sub_f32 v48, v37, v33 :: v_dual_fmac_f32 v23, v55, v70
	v_dual_fmac_f32 v30, -0.5, v51 :: v_dual_fmac_f32 v21, v13, v82
	v_dual_sub_f32 v52, v34, v17 :: v_dual_add_f32 v65, v32, v18
	v_fmamk_f32 v51, v48, 0x3f5db3d7, v44
	v_dual_fmac_f32 v44, 0xbf5db3d7, v48 :: v_dual_add_f32 v55, v34, v17
	v_sub_f32_e32 v35, v35, v41
	v_add_f32_e32 v41, v50, v41
	v_sub_f32_e32 v13, v42, v39
	v_fmac_f32_e32 v15, v22, v62
	v_sub_f32_e32 v62, v46, v12
	v_fma_f32 v22, v9, v76, -v69
	v_sub_f32_e32 v9, v43, v38
	v_dual_mul_f32 v47, 0x3f5db3d7, v10 :: v_dual_add_f32 v48, v65, v41
	s_delay_alu instid0(VALU_DEP_2)
	v_fmamk_f32 v63, v9, 0x3f5db3d7, v60
	v_fmac_f32_e32 v60, 0xbf5db3d7, v9
	v_fmamk_f32 v9, v52, 0x3f5db3d7, v30
	v_fmac_f32_e32 v30, 0xbf5db3d7, v52
	v_sub_f32_e32 v52, v65, v41
	v_fmamk_f32 v11, v13, 0x3f5db3d7, v36
	v_dual_fmac_f32 v36, 0xbf5db3d7, v13 :: v_dual_add_f32 v13, v6, v7
	v_fma_f32 v6, -0.5, v55, v15
	v_fmac_f32_e32 v29, v56, v72
	v_add_f32_e32 v56, v46, v12
	s_delay_alu instid0(VALU_DEP_4) | instskip(NEXT) | instid1(VALU_DEP_4)
	v_dual_mul_f32 v50, -0.5, v36 :: v_dual_add_f32 v61, v28, v21
	v_fmamk_f32 v7, v35, 0xbf5db3d7, v6
	v_fmac_f32_e32 v6, 0x3f5db3d7, v35
	s_delay_alu instid0(VALU_DEP_4) | instskip(SKIP_4) | instid1(VALU_DEP_4)
	v_fma_f32 v31, -0.5, v56, v16
	v_mul_f32_e32 v56, -0.5, v30
	v_fma_f32 v32, -0.5, v61, v23
	v_mul_f32_e32 v55, 0x3f5db3d7, v7
	v_dual_fmac_f32 v47, 0.5, v11 :: v_dual_fmac_f32 v50, 0x3f5db3d7, v8
	v_fmac_f32_e32 v56, 0x3f5db3d7, v6
	s_delay_alu instid0(VALU_DEP_4) | instskip(NEXT) | instid1(VALU_DEP_4)
	v_fmamk_f32 v35, v62, 0xbf5db3d7, v32
	v_fmac_f32_e32 v55, 0.5, v9
	v_dual_sub_f32 v57, v28, v21 :: v_dual_fmac_f32 v32, 0x3f5db3d7, v62
	v_add_f32_e32 v61, v60, v50
	v_sub_f32_e32 v50, v60, v50
	s_delay_alu instid0(VALU_DEP_3)
	v_dual_add_f32 v60, v51, v55 :: v_dual_fmamk_f32 v41, v57, 0x3f5db3d7, v31
	v_fmac_f32_e32 v31, 0xbf5db3d7, v57
	v_add_f32_e32 v57, v63, v47
	v_dual_sub_f32 v47, v63, v47 :: v_dual_add_f32 v62, v44, v56
	v_dual_sub_f32 v51, v51, v55 :: v_dual_sub_f32 v44, v44, v56
	ds_store_2addr_b32 v26, v13, v57 offset1:17
	ds_store_2addr_b32 v26, v61, v64 offset0:34 offset1:51
	ds_store_2addr_b32 v26, v47, v50 offset0:68 offset1:85
	ds_store_2addr_b32 v27, v48, v60 offset1:17
	ds_store_2addr_b32 v27, v62, v52 offset0:34 offset1:51
	ds_store_2addr_b32 v27, v51, v44 offset0:68 offset1:85
	s_and_saveexec_b32 s1, s0
	s_cbranch_execz .LBB0_23
; %bb.22:
	v_dual_add_f32 v13, v20, v22 :: v_dual_sub_f32 v44, v29, v19
	v_dual_mul_f32 v47, -0.5, v31 :: v_dual_add_f32 v50, v5, v20
	v_mul_f32_e32 v48, 0x3f5db3d7, v35
	s_delay_alu instid0(VALU_DEP_3) | instskip(SKIP_1) | instid1(VALU_DEP_4)
	v_fma_f32 v5, -0.5, v13, v5
	v_add_f32_e32 v13, v16, v46
	v_dual_fmac_f32 v47, 0x3f5db3d7, v32 :: v_dual_add_f32 v16, v50, v22
	s_delay_alu instid0(VALU_DEP_4) | instskip(NEXT) | instid1(VALU_DEP_4)
	v_fmac_f32_e32 v48, 0.5, v41
	v_fmamk_f32 v46, v44, 0xbf5db3d7, v5
	v_fmac_f32_e32 v5, 0x3f5db3d7, v44
	v_add_f32_e32 v12, v13, v12
	v_add3_u32 v13, 0, v25, v0
	s_delay_alu instid0(VALU_DEP_3) | instskip(NEXT) | instid1(VALU_DEP_3)
	v_sub_f32_e32 v50, v5, v48
	v_sub_f32_e32 v51, v16, v12
	v_dual_add_f32 v5, v5, v48 :: v_dual_sub_f32 v44, v46, v47
	v_add_f32_e32 v12, v16, v12
	v_add_nc_u32_e32 v16, 0x1000, v13
	v_dual_add_f32 v46, v46, v47 :: v_dual_add_nc_u32 v13, 0x1400, v13
	ds_store_2addr_b32 v16, v12, v5 offset0:200 offset1:217
	ds_store_2addr_b32 v16, v46, v51 offset0:234 offset1:251
	;; [unrolled: 1-line block ×3, first 2 shown]
.LBB0_23:
	s_wait_alu 0xfffe
	s_or_b32 exec_lo, exec_lo, s1
	v_dual_add_f32 v5, v43, v38 :: v_dual_add_f32 v12, v24, v43
	v_dual_sub_f32 v13, v53, v49 :: v_dual_add_f32 v16, v40, v42
	v_mul_f32_e32 v40, 0xbf5db3d7, v11
	s_delay_alu instid0(VALU_DEP_3) | instskip(SKIP_4) | instid1(VALU_DEP_4)
	v_fmac_f32_e32 v24, -0.5, v5
	v_dual_mul_f32 v42, -0.5, v8 :: v_dual_add_f32 v11, v14, v37
	v_add_f32_e32 v5, v12, v38
	v_add_f32_e32 v8, v16, v39
	v_fmac_f32_e32 v40, 0.5, v10
	v_fmac_f32_e32 v42, 0xbf5db3d7, v36
	v_add_f32_e32 v10, v37, v33
	v_dual_add_f32 v33, v11, v33 :: v_dual_fmamk_f32 v38, v13, 0xbf5db3d7, v24
	v_add_f32_e32 v36, v5, v8
	v_sub_f32_e32 v37, v5, v8
	v_dual_add_f32 v5, v15, v34 :: v_dual_mul_f32 v34, 0xbf5db3d7, v9
	s_delay_alu instid0(VALU_DEP_4) | instskip(SKIP_2) | instid1(VALU_DEP_4)
	v_dual_add_f32 v39, v38, v40 :: v_dual_fmac_f32 v24, 0x3f5db3d7, v13
	v_fmac_f32_e32 v14, -0.5, v10
	v_sub_f32_e32 v10, v45, v18
	v_dual_add_f32 v45, v5, v17 :: v_dual_mul_f32 v46, -0.5, v6
	v_add_nc_u32_e32 v5, 0x400, v58
	v_add_nc_u32_e32 v6, 0x600, v58
	v_dual_fmac_f32 v34, 0.5, v7 :: v_dual_add_nc_u32 v15, 0xc00, v58
	v_add_nc_u32_e32 v7, 0xa00, v58
	v_add_f32_e32 v43, v24, v42
	v_add_nc_u32_e32 v17, 0x1000, v58
	v_fmamk_f32 v44, v10, 0xbf5db3d7, v14
	v_fmac_f32_e32 v14, 0x3f5db3d7, v10
	global_wb scope:SCOPE_SE
	s_wait_dscnt 0x0
	s_barrier_signal -1
	s_barrier_wait -1
	global_inv scope:SCOPE_SE
	ds_load_b32 v13, v59
	ds_load_2addr_b32 v[9:10], v58 offset0:102 offset1:204
	v_fmac_f32_e32 v46, 0xbf5db3d7, v30
	v_sub_f32_e32 v30, v38, v40
	ds_load_2addr_b32 v[11:12], v5 offset0:50 offset1:152
	ds_load_2addr_b32 v[5:6], v6 offset0:126 offset1:228
	;; [unrolled: 1-line block ×5, first 2 shown]
	v_sub_f32_e32 v24, v24, v42
	v_add_f32_e32 v38, v33, v45
	v_dual_sub_f32 v33, v33, v45 :: v_dual_add_f32 v40, v44, v34
	v_add_f32_e32 v42, v14, v46
	v_sub_f32_e32 v34, v44, v34
	v_sub_f32_e32 v14, v14, v46
	global_wb scope:SCOPE_SE
	s_wait_dscnt 0x0
	s_barrier_signal -1
	s_barrier_wait -1
	global_inv scope:SCOPE_SE
	ds_store_2addr_b32 v26, v36, v39 offset1:17
	ds_store_2addr_b32 v26, v43, v37 offset0:34 offset1:51
	ds_store_2addr_b32 v26, v30, v24 offset0:68 offset1:85
	ds_store_2addr_b32 v27, v38, v40 offset1:17
	ds_store_2addr_b32 v27, v42, v33 offset0:34 offset1:51
	ds_store_2addr_b32 v27, v34, v14 offset0:68 offset1:85
	s_and_saveexec_b32 s1, s0
	s_cbranch_execz .LBB0_25
; %bb.24:
	v_add_f32_e32 v14, v29, v19
	v_sub_f32_e32 v20, v20, v22
	v_dual_add_f32 v22, v23, v28 :: v_dual_mul_f32 v23, 0xbf5db3d7, v41
	v_add_f32_e32 v24, v54, v29
	v_add3_u32 v0, 0, v25, v0
	s_delay_alu instid0(VALU_DEP_3) | instskip(NEXT) | instid1(VALU_DEP_3)
	v_dual_fmac_f32 v23, 0.5, v35 :: v_dual_fmac_f32 v54, -0.5, v14
	v_add_f32_e32 v19, v24, v19
	v_dual_add_f32 v21, v22, v21 :: v_dual_mul_f32 v14, -0.5, v32
	s_delay_alu instid0(VALU_DEP_3) | instskip(NEXT) | instid1(VALU_DEP_2)
	v_fmamk_f32 v22, v20, 0xbf5db3d7, v54
	v_add_f32_e32 v24, v19, v21
	s_delay_alu instid0(VALU_DEP_3) | instskip(NEXT) | instid1(VALU_DEP_3)
	v_dual_sub_f32 v19, v19, v21 :: v_dual_fmac_f32 v14, 0xbf5db3d7, v31
	v_dual_add_f32 v25, v22, v23 :: v_dual_fmamk_f32 v20, v20, 0x3f5db3d7, v54
	v_dual_sub_f32 v21, v22, v23 :: v_dual_add_nc_u32 v22, 0x1000, v0
	v_add_nc_u32_e32 v0, 0x1400, v0
	s_delay_alu instid0(VALU_DEP_3)
	v_add_f32_e32 v26, v20, v14
	v_sub_f32_e32 v14, v20, v14
	ds_store_2addr_b32 v22, v24, v25 offset0:200 offset1:217
	ds_store_2addr_b32 v22, v26, v19 offset0:234 offset1:251
	;; [unrolled: 1-line block ×3, first 2 shown]
.LBB0_25:
	s_wait_alu 0xfffe
	s_or_b32 exec_lo, exec_lo, s1
	global_wb scope:SCOPE_SE
	s_wait_dscnt 0x0
	s_barrier_signal -1
	s_barrier_wait -1
	global_inv scope:SCOPE_SE
	s_and_saveexec_b32 s0, vcc_lo
	s_cbranch_execz .LBB0_27
; %bb.26:
	v_mul_u32_u24_e32 v0, 12, v4
	s_delay_alu instid0(VALU_DEP_1)
	v_lshlrev_b32_e32 v0, 3, v0
	s_clause 0x5
	global_load_b128 v[25:28], v0, s[4:5] offset:760
	global_load_b128 v[30:33], v0, s[4:5] offset:680
	;; [unrolled: 1-line block ×6, first 2 shown]
	v_add_nc_u32_e32 v0, 0x1000, v58
	s_wait_loadcnt 0x5
	v_dual_mul_f32 v19, v18, v28 :: v_dual_add_nc_u32 v4, 0xc00, v58
	ds_load_2addr_b32 v[50:51], v58 offset0:102 offset1:204
	ds_load_2addr_b32 v[52:53], v0 offset0:98 offset1:200
	s_wait_loadcnt 0x3
	v_dual_mul_f32 v21, v16, v37 :: v_dual_add_nc_u32 v0, 0x400, v58
	v_dual_mul_f32 v63, v10, v33 :: v_dual_mul_f32 v22, v15, v35
	s_wait_loadcnt 0x0
	v_mul_f32_e32 v29, v6, v49
	v_mul_f32_e32 v64, v12, v41
	;; [unrolled: 1-line block ×3, first 2 shown]
	s_wait_dscnt 0x1
	v_mul_f32_e32 v24, v51, v33
	v_mul_f32_e32 v33, v11, v39
	ds_load_2addr_b32 v[54:55], v0 offset0:50 offset1:152
	ds_load_2addr_b32 v[56:57], v4 offset0:150 offset1:252
	v_add_nc_u32_e32 v4, 0x600, v58
	v_add_nc_u32_e32 v14, 0xa00, v58
	v_mul_f32_e32 v62, v9, v31
	s_wait_dscnt 0x2
	v_fmac_f32_e32 v19, v53, v27
	v_fmac_f32_e32 v63, v51, v32
	s_wait_dscnt 0x1
	v_mul_f32_e32 v41, v55, v41
	v_mul_f32_e32 v39, v54, v39
	s_wait_dscnt 0x0
	v_mul_f32_e32 v37, v57, v37
	ds_load_b32 v0, v59
	ds_load_2addr_b32 v[58:59], v4 offset0:126 offset1:228
	ds_load_2addr_b32 v[60:61], v14 offset0:74 offset1:176
	v_mul_f32_e32 v4, v50, v31
	v_dual_mul_f32 v14, v53, v28 :: v_dual_mul_f32 v35, v56, v35
	v_mul_f32_e32 v20, v17, v26
	v_dual_mul_f32 v28, v52, v26 :: v_dual_mul_f32 v31, v5, v47
	s_delay_alu instid0(VALU_DEP_3)
	v_fma_f32 v18, v18, v27, -v14
	v_fma_f32 v51, v10, v32, -v24
	v_dual_mul_f32 v26, v7, v43 :: v_dual_fmac_f32 v21, v57, v36
	v_fmac_f32_e32 v62, v50, v30
	v_fma_f32 v24, v16, v36, -v37
	v_fmac_f32_e32 v22, v56, v34
	v_fma_f32 v36, v12, v40, -v41
	;; [unrolled: 2-line block ×3, first 2 shown]
	s_wait_dscnt 0x1
	v_mul_f32_e32 v47, v58, v47
	s_wait_dscnt 0x0
	v_fmac_f32_e32 v23, v61, v44
	v_mul_f32_e32 v45, v61, v45
	v_fmac_f32_e32 v20, v52, v25
	v_mul_f32_e32 v49, v59, v49
	v_fma_f32 v32, v5, v46, -v47
	v_mul_f32_e32 v43, v60, v43
	v_fma_f32 v27, v8, v44, -v45
	v_fmac_f32_e32 v31, v58, v46
	v_fma_f32 v17, v17, v25, -v28
	v_fma_f32 v25, v15, v34, -v35
	v_dual_fmac_f32 v26, v60, v42 :: v_dual_fmac_f32 v29, v59, v48
	v_dual_sub_f32 v40, v32, v27 :: v_dual_fmac_f32 v33, v54, v38
	v_add_f32_e32 v4, v23, v31
	v_fma_f32 v38, v11, v38, -v39
	v_fma_f32 v30, v6, v48, -v49
	;; [unrolled: 1-line block ×3, first 2 shown]
	v_dual_add_f32 v15, v19, v62 :: v_dual_add_f32 v6, v22, v64
	v_dual_add_f32 v7, v21, v33 :: v_dual_sub_f32 v42, v62, v19
	v_sub_f32_e32 v45, v64, v22
	v_dual_sub_f32 v34, v50, v18 :: v_dual_add_f32 v9, v20, v63
	v_dual_sub_f32 v35, v51, v17 :: v_dual_add_f32 v16, v18, v50
	v_dual_add_f32 v5, v26, v29 :: v_dual_add_f32 v12, v24, v38
	v_dual_sub_f32 v43, v63, v20 :: v_dual_add_f32 v8, v28, v30
	v_dual_add_f32 v11, v25, v36 :: v_dual_sub_f32 v46, v31, v23
	s_delay_alu instid0(VALU_DEP_3)
	v_dual_add_f32 v49, v13, v50 :: v_dual_mul_f32 v56, 0xbeb58ec6, v5
	v_mul_f32_e32 v50, 0xbf3f9e67, v15
	v_dual_mul_f32 v60, 0x3e750f2a, v45 :: v_dual_mul_f32 v81, 0x3e750f2a, v40
	v_dual_mul_f32 v71, 0xbe750f2a, v42 :: v_dual_mul_f32 v90, 0xbe750f2a, v35
	v_dual_sub_f32 v37, v38, v24 :: v_dual_add_f32 v14, v17, v51
	v_dual_sub_f32 v39, v36, v25 :: v_dual_add_f32 v10, v27, v32
	v_dual_sub_f32 v41, v30, v28 :: v_dual_sub_f32 v44, v33, v21
	v_dual_mul_f32 v61, 0x3eedf032, v46 :: v_dual_mul_f32 v72, 0x3eedf032, v43
	v_dual_fmamk_f32 v126, v11, 0xbf788fa5, v60 :: v_dual_fmamk_f32 v135, v16, 0xbf788fa5, v71
	s_delay_alu instid0(VALU_DEP_3)
	v_dual_mul_f32 v57, 0xbf29c268, v42 :: v_dual_mul_f32 v94, 0xbf29c268, v41
	v_dual_mul_f32 v68, 0x3f116cb1, v6 :: v_dual_add_f32 v49, v49, v51
	v_dual_mul_f32 v79, 0x3eedf032, v37 :: v_dual_mul_f32 v92, 0x3eedf032, v39
	v_dual_mul_f32 v86, 0xbf7e222b, v45 :: v_dual_mul_f32 v95, 0xbf7e222b, v42
	v_dual_mul_f32 v91, 0x3f6f5d39, v37 :: v_dual_fmamk_f32 v122, v41, 0x3f6f5d39, v56
	v_fmamk_f32 v136, v14, 0x3f62ad3f, v72
	v_dual_fmac_f32 v56, 0xbf6f5d39, v41 :: v_dual_add_f32 v135, v13, v135
	v_dual_mul_f32 v58, 0x3f7e222b, v43 :: v_dual_mul_f32 v105, 0x3f7e222b, v40
	v_dual_mul_f32 v93, 0xbf52af12, v40 :: v_dual_fmamk_f32 v132, v39, 0xbf52af12, v68
	s_delay_alu instid0(VALU_DEP_3)
	v_dual_fmac_f32 v68, 0x3f52af12, v39 :: v_dual_add_f32 v135, v135, v136
	v_fma_f32 v136, 0x3df6dbef, v16, -v95
	v_fmamk_f32 v123, v16, 0xbf3f9e67, v57
	v_dual_sub_f32 v47, v29, v26 :: v_dual_mul_f32 v52, 0x3df6dbef, v9
	v_dual_add_f32 v48, v0, v62 :: v_dual_mul_f32 v53, 0x3f116cb1, v7
	v_dual_mul_f32 v80, 0xbf7e222b, v39 :: v_dual_mul_f32 v89, 0xbf7e222b, v34
	v_add_f32_e32 v136, v13, v136
	v_dual_fmamk_f32 v124, v14, 0x3df6dbef, v58 :: v_dual_add_f32 v123, v13, v123
	v_dual_mul_f32 v55, 0x3f62ad3f, v4 :: v_dual_mul_f32 v66, 0x3f62ad3f, v9
	v_dual_mul_f32 v69, 0xbeb58ec6, v4 :: v_dual_add_f32 v48, v48, v63
	v_dual_mul_f32 v76, 0x3f7e222b, v47 :: v_dual_mul_f32 v111, 0x3f7e222b, v46
	v_mul_f32_e32 v70, 0x3df6dbef, v5
	v_dual_mul_f32 v78, 0x3f29c268, v35 :: v_dual_fmamk_f32 v51, v34, 0x3f29c268, v50
	v_dual_mul_f32 v112, 0x3eedf032, v47 :: v_dual_add_f32 v123, v123, v124
	v_fmamk_f32 v124, v15, 0x3df6dbef, v89
	v_dual_mul_f32 v59, 0xbf52af12, v44 :: v_dual_mul_f32 v114, 0xbf52af12, v35
	v_mul_f32_e32 v67, 0xbf3f9e67, v7
	v_dual_mul_f32 v77, 0xbf6f5d39, v34 :: v_dual_mul_f32 v102, 0xbf6f5d39, v35
	v_dual_mul_f32 v88, 0x3f52af12, v47 :: v_dual_add_f32 v33, v48, v33
	v_mul_f32_e32 v82, 0x3f52af12, v41
	v_mul_f32_e32 v106, 0x3eedf032, v41
	v_dual_mul_f32 v109, 0xbe750f2a, v44 :: v_dual_mul_f32 v118, 0xbe750f2a, v41
	v_dual_mul_f32 v110, 0x3f29c268, v45 :: v_dual_add_f32 v51, v0, v51
	v_dual_mul_f32 v113, 0xbeedf032, v34 :: v_dual_fmamk_f32 v130, v35, 0xbeedf032, v66
	v_dual_fmamk_f32 v63, v35, 0xbf7e222b, v52 :: v_dual_add_f32 v124, v0, v124
	v_fmac_f32_e32 v66, 0x3eedf032, v35
	v_fmac_f32_e32 v52, 0x3f7e222b, v35
	v_fmamk_f32 v35, v8, 0x3df6dbef, v76
	s_delay_alu instid0(VALU_DEP_4)
	v_dual_fmamk_f32 v134, v41, 0xbf7e222b, v70 :: v_dual_add_f32 v51, v51, v63
	v_fma_f32 v71, 0xbf788fa5, v16, -v71
	v_fmac_f32_e32 v70, 0x3f7e222b, v41
	v_fma_f32 v41, 0xbf788fa5, v11, -v60
	v_fmamk_f32 v60, v9, 0xbf3f9e67, v78
	v_fmac_f32_e32 v50, 0xbf29c268, v34
	v_dual_mul_f32 v54, 0xbf788fa5, v6 :: v_dual_mul_f32 v65, 0xbf788fa5, v15
	v_dual_mul_f32 v62, 0xbf6f5d39, v47 :: v_dual_mul_f32 v75, 0xbf6f5d39, v46
	;; [unrolled: 1-line block ×3, first 2 shown]
	v_dual_mul_f32 v84, 0x3f29c268, v43 :: v_dual_fmamk_f32 v131, v37, 0x3f29c268, v67
	v_dual_mul_f32 v96, 0xbe750f2a, v43 :: v_dual_mul_f32 v103, 0xbe750f2a, v37
	v_fmac_f32_e32 v67, 0xbf29c268, v37
	v_dual_mul_f32 v43, 0xbf52af12, v43 :: v_dual_add_f32 v50, v0, v50
	v_mul_f32_e32 v101, 0xbf52af12, v34
	v_fma_f32 v72, 0x3f62ad3f, v14, -v72
	v_add_f32_e32 v71, v13, v71
	v_dual_mul_f32 v73, 0xbf29c268, v44 :: v_dual_mul_f32 v100, 0xbf29c268, v47
	v_mul_f32_e32 v87, 0x3e750f2a, v46
	v_dual_mul_f32 v97, 0x3f6f5d39, v44 :: v_dual_add_f32 v38, v49, v38
	v_mul_f32_e32 v116, 0xbf6f5d39, v39
	v_dual_mul_f32 v47, 0xbe750f2a, v47 :: v_dual_fmamk_f32 v120, v39, 0xbe750f2a, v54
	v_fmamk_f32 v128, v8, 0xbeb58ec6, v62
	v_fmamk_f32 v129, v34, 0x3e750f2a, v65
	v_mul_f32_e32 v104, 0x3f29c268, v39
	v_fmac_f32_e32 v54, 0x3e750f2a, v39
	v_fma_f32 v39, 0x3df6dbef, v14, -v58
	v_fma_f32 v58, 0xbeb58ec6, v8, -v62
	v_add_f32_e32 v129, v0, v129
	v_dual_fmamk_f32 v62, v4, 0xbf788fa5, v81 :: v_dual_add_f32 v71, v71, v72
	v_add_f32_e32 v33, v33, v64
	v_dual_add_f32 v50, v50, v52 :: v_dual_fmamk_f32 v49, v5, 0x3f116cb1, v82
	v_fmamk_f32 v72, v15, 0x3f116cb1, v101
	v_fmac_f32_e32 v65, 0xbe750f2a, v34
	v_dual_mul_f32 v74, 0x3f52af12, v45 :: v_dual_fmamk_f32 v119, v37, 0x3f52af12, v53
	s_delay_alu instid0(VALU_DEP_3) | instskip(NEXT) | instid1(VALU_DEP_3)
	v_dual_mul_f32 v115, 0xbf7e222b, v37 :: v_dual_add_f32 v72, v0, v72
	v_add_f32_e32 v65, v0, v65
	v_fma_f32 v64, 0xbeb58ec6, v16, -v83
	v_dual_mul_f32 v99, 0xbf52af12, v46 :: v_dual_add_f32 v36, v38, v36
	v_mul_f32_e32 v107, 0xbf52af12, v42
	s_delay_alu instid0(VALU_DEP_4) | instskip(NEXT) | instid1(VALU_DEP_4)
	v_add_f32_e32 v65, v65, v66
	v_add_f32_e32 v64, v13, v64
	v_fma_f32 v66, 0xbf788fa5, v14, -v96
	v_fmac_f32_e32 v53, 0xbf52af12, v37
	v_fma_f32 v37, 0xbf3f9e67, v16, -v57
	v_fmamk_f32 v48, v6, 0x3df6dbef, v80
	v_fma_f32 v38, 0xbf3f9e67, v14, -v84
	v_dual_mul_f32 v42, 0xbeedf032, v42 :: v_dual_fmamk_f32 v121, v40, 0xbeedf032, v55
	s_delay_alu instid0(VALU_DEP_4) | instskip(NEXT) | instid1(VALU_DEP_3)
	v_add_f32_e32 v37, v13, v37
	v_dual_fmamk_f32 v127, v10, 0x3f62ad3f, v61 :: v_dual_add_f32 v38, v64, v38
	v_dual_fmamk_f32 v34, v10, 0xbeb58ec6, v75 :: v_dual_add_f32 v129, v129, v130
	v_fmamk_f32 v130, v9, 0xbf788fa5, v90
	s_delay_alu instid0(VALU_DEP_4)
	v_dual_add_f32 v37, v37, v39 :: v_dual_fmamk_f32 v64, v15, 0x3f62ad3f, v113
	v_fma_f32 v39, 0x3f116cb1, v16, -v107
	v_dual_mul_f32 v117, 0xbf29c268, v40 :: v_dual_mul_f32 v46, 0xbf29c268, v46
	v_dual_fmamk_f32 v125, v12, 0x3f116cb1, v59 :: v_dual_fmamk_f32 v138, v11, 0x3f116cb1, v74
	v_dual_fmac_f32 v55, 0x3eedf032, v40 :: v_dual_add_f32 v124, v124, v130
	v_fmamk_f32 v130, v9, 0x3f116cb1, v114
	v_add_f32_e32 v66, v136, v66
	v_fma_f32 v136, 0x3f62ad3f, v16, -v42
	v_fmamk_f32 v133, v40, 0x3f6f5d39, v69
	v_dual_add_f32 v39, v13, v39 :: v_dual_add_f32 v64, v0, v64
	v_fmac_f32_e32 v69, 0xbf6f5d39, v40
	v_fma_f32 v40, 0x3f116cb1, v12, -v59
	v_fmamk_f32 v59, v15, 0xbeb58ec6, v77
	v_fma_f32 v77, 0xbeb58ec6, v15, -v77
	v_dual_fmac_f32 v83, 0xbeb58ec6, v16 :: v_dual_add_f32 v50, v50, v53
	v_dual_mul_f32 v85, 0x3eedf032, v44 :: v_dual_mul_f32 v98, 0x3eedf032, v45
	s_delay_alu instid0(VALU_DEP_4) | instskip(SKIP_3) | instid1(VALU_DEP_4)
	v_add_f32_e32 v59, v0, v59
	v_dual_fmamk_f32 v137, v12, 0xbf3f9e67, v73 :: v_dual_fmac_f32 v84, 0xbf3f9e67, v14
	v_add_f32_e32 v136, v13, v136
	v_fma_f32 v78, 0xbf3f9e67, v9, -v78
	v_add_f32_e32 v59, v59, v60
	v_fma_f32 v60, 0xbeb58ec6, v14, -v108
	v_dual_fmamk_f32 v52, v9, 0xbeb58ec6, v102 :: v_dual_add_f32 v77, v0, v77
	v_dual_add_f32 v83, v13, v83 :: v_dual_add_f32 v32, v36, v32
	s_delay_alu instid0(VALU_DEP_3) | instskip(NEXT) | instid1(VALU_DEP_3)
	v_add_f32_e32 v39, v39, v60
	v_dual_add_f32 v52, v72, v52 :: v_dual_add_f32 v31, v33, v31
	v_fma_f32 v72, 0x3f116cb1, v14, -v43
	v_mul_f32_e32 v44, 0xbf7e222b, v44
	v_fma_f32 v73, 0xbf3f9e67, v12, -v73
	v_fma_f32 v63, 0x3f62ad3f, v12, -v85
	s_delay_alu instid0(VALU_DEP_4)
	v_dual_fmamk_f32 v33, v7, 0xbeb58ec6, v91 :: v_dual_add_f32 v72, v136, v72
	v_dual_fmamk_f32 v36, v6, 0x3f62ad3f, v92 :: v_dual_add_f32 v77, v77, v78
	;; [unrolled: 1-line block ×4, first 2 shown]
	v_fma_f32 v119, 0xbeb58ec6, v12, -v97
	v_dual_add_f32 v65, v65, v67 :: v_dual_add_f32 v30, v32, v30
	v_fmamk_f32 v67, v7, 0xbf788fa5, v103
	v_fma_f32 v57, 0x3f62ad3f, v10, -v61
	s_delay_alu instid0(VALU_DEP_4)
	v_dual_add_f32 v66, v66, v119 :: v_dual_fmamk_f32 v61, v7, 0x3f62ad3f, v79
	v_fma_f32 v60, 0x3df6dbef, v11, -v86
	v_add_f32_e32 v123, v123, v125
	v_fma_f32 v125, 0x3f62ad3f, v11, -v98
	v_dual_add_f32 v135, v135, v137 :: v_dual_add_f32 v38, v38, v63
	v_dual_add_f32 v71, v71, v73 :: v_dual_add_f32 v52, v52, v67
	;; [unrolled: 1-line block ×3, first 2 shown]
	v_fma_f32 v67, 0x3df6dbef, v12, -v44
	v_fma_f32 v74, 0x3f116cb1, v11, -v74
	v_dual_add_f32 v64, v64, v130 :: v_dual_add_f32 v129, v129, v131
	v_fma_f32 v131, 0x3f116cb1, v10, -v99
	v_add_f32_e32 v37, v37, v40
	v_dual_fmamk_f32 v119, v7, 0x3df6dbef, v115 :: v_dual_add_f32 v38, v38, v60
	v_fmamk_f32 v73, v6, 0xbf3f9e67, v104
	v_add_f32_e32 v67, v72, v67
	v_dual_fmamk_f32 v72, v4, 0xbf3f9e67, v117 :: v_dual_add_f32 v59, v59, v61
	v_fma_f32 v61, 0xbf788fa5, v12, -v109
	v_fma_f32 v79, 0x3f62ad3f, v7, -v79
	v_fmac_f32_e32 v85, 0x3f62ad3f, v12
	v_dual_add_f32 v33, v33, v36 :: v_dual_add_f32 v36, v66, v125
	v_mul_f32_e32 v45, 0xbf6f5d39, v45
	v_fma_f32 v130, 0xbf788fa5, v10, -v87
	v_dual_fmamk_f32 v53, v4, 0x3df6dbef, v105 :: v_dual_add_f32 v32, v77, v79
	v_fmamk_f32 v40, v5, 0x3f62ad3f, v106
	v_fma_f32 v63, 0xbf3f9e67, v11, -v110
	v_dual_add_f32 v64, v64, v119 :: v_dual_fmamk_f32 v119, v6, 0xbeb58ec6, v116
	v_dual_add_f32 v29, v31, v29 :: v_dual_add_f32 v28, v28, v30
	v_fma_f32 v80, 0x3df6dbef, v6, -v80
	v_add_f32_e32 v79, v83, v85
	v_fma_f32 v85, 0x3df6dbef, v15, -v89
	v_add_f32_e32 v51, v51, v120
	v_dual_add_f32 v89, v123, v126 :: v_dual_add_f32 v50, v50, v55
	v_dual_add_f32 v120, v129, v132 :: v_dual_add_f32 v123, v135, v138
	;; [unrolled: 1-line block ×5, first 2 shown]
	v_add_f32_e32 v48, v52, v73
	v_dual_add_f32 v39, v39, v61 :: v_dual_add_f32 v52, v64, v119
	v_fma_f32 v124, 0x3df6dbef, v10, -v111
	v_dual_fmamk_f32 v139, v5, 0xbf788fa5, v118 :: v_dual_add_f32 v26, v26, v29
	s_delay_alu instid0(VALU_DEP_3)
	v_dual_add_f32 v39, v39, v63 :: v_dual_add_f32 v52, v52, v72
	v_add_f32_e32 v34, v123, v34
	v_fma_f32 v75, 0xbeb58ec6, v10, -v75
	v_fma_f32 v136, 0x3f116cb1, v8, -v88
	;; [unrolled: 1-line block ×4, first 2 shown]
	v_add_f32_e32 v37, v37, v57
	v_add_f32_e32 v39, v39, v124
	v_dual_add_f32 v57, v27, v28 :: v_dual_add_f32 v28, v34, v35
	v_add_f32_e32 v55, v33, v78
	v_add_f32_e32 v33, v23, v26
	v_fma_f32 v31, 0xbeb58ec6, v11, -v45
	v_add_f32_e32 v59, v68, v75
	v_fma_f32 v137, 0xbf3f9e67, v8, -v100
	v_fma_f32 v77, 0xbf3f9e67, v10, -v46
	v_add_f32_e32 v34, v22, v33
	v_add_f32_e32 v30, v89, v127
	;; [unrolled: 1-line block ×3, first 2 shown]
	v_dual_add_f32 v25, v25, v57 :: v_dual_fmac_f32 v96, 0xbf788fa5, v14
	s_delay_alu instid0(VALU_DEP_4)
	v_add_f32_e32 v34, v21, v34
	v_fma_f32 v76, 0x3df6dbef, v8, -v76
	v_add_f32_e32 v54, v32, v80
	v_add_f32_e32 v32, v120, v133
	v_dual_add_f32 v29, v51, v121 :: v_dual_add_f32 v22, v37, v58
	v_add_f32_e32 v51, v65, v69
	v_dual_add_f32 v48, v48, v53 :: v_dual_add_f32 v41, v41, v62
	v_dual_add_f32 v26, v30, v128 :: v_dual_add_f32 v53, v31, v77
	v_dual_add_f32 v35, v24, v25 :: v_dual_fmac_f32 v88, 0x3f116cb1, v8
	v_add_f32_e32 v24, v36, v137
	v_add_f32_e32 v36, v20, v34
	;; [unrolled: 1-line block ×4, first 2 shown]
	v_fma_f32 v37, 0xbf788fa5, v9, -v90
	v_dual_add_f32 v21, v48, v40 :: v_dual_fmac_f32 v108, 0xbeb58ec6, v14
	v_dual_add_f32 v19, v19, v36 :: v_dual_add_f32 v36, v0, v85
	v_add_f32_e32 v23, v50, v56
	v_fma_f32 v40, 0xbeb58ec6, v7, -v91
	v_fma_f32 v81, 0xbf788fa5, v4, -v81
	v_dual_add_f32 v27, v29, v122 :: v_dual_fmac_f32 v86, 0x3df6dbef, v11
	v_add_f32_e32 v36, v36, v37
	v_add_f32_e32 v33, v41, v49
	v_dual_add_f32 v20, v39, v61 :: v_dual_fmac_f32 v87, 0xbf788fa5, v10
	s_delay_alu instid0(VALU_DEP_4) | instskip(NEXT) | instid1(VALU_DEP_4)
	v_dual_add_f32 v39, v79, v86 :: v_dual_fmac_f32 v100, 0xbf3f9e67, v8
	v_add_f32_e32 v36, v36, v40
	v_fma_f32 v40, 0x3f62ad3f, v6, -v92
	v_add_f32_e32 v17, v17, v35
	v_dual_add_f32 v29, v32, v134 :: v_dual_add_f32 v32, v38, v136
	v_fma_f32 v38, 0x3f116cb1, v5, -v82
	s_delay_alu instid0(VALU_DEP_4) | instskip(NEXT) | instid1(VALU_DEP_4)
	v_add_f32_e32 v40, v36, v40
	v_add_f32_e32 v18, v18, v17
	v_fma_f32 v48, 0x3f116cb1, v4, -v93
	v_add_f32_e32 v17, v54, v81
	v_fmac_f32_e32 v109, 0xbf788fa5, v12
	v_fmac_f32_e32 v95, 0x3df6dbef, v16
	v_fma_f32 v41, 0xbeb58ec6, v9, -v102
	s_delay_alu instid0(VALU_DEP_4) | instskip(SKIP_1) | instid1(VALU_DEP_4)
	v_dual_fmac_f32 v42, 0x3f62ad3f, v16 :: v_dual_add_f32 v37, v17, v38
	v_add_f32_e32 v38, v39, v87
	v_add_f32_e32 v17, v13, v95
	v_fma_f32 v39, 0x3f116cb1, v15, -v101
	v_fma_f32 v15, 0x3f62ad3f, v15, -v113
	;; [unrolled: 1-line block ×3, first 2 shown]
	v_dual_add_f32 v25, v55, v84 :: v_dual_fmac_f32 v98, 0x3f62ad3f, v11
	v_dual_add_f32 v17, v17, v96 :: v_dual_fmac_f32 v110, 0xbf3f9e67, v11
	v_add_f32_e32 v39, v0, v39
	v_dual_add_f32 v0, v0, v15 :: v_dual_fmac_f32 v97, 0xbeb58ec6, v12
	v_fmac_f32_e32 v99, 0x3f116cb1, v10
	s_delay_alu instid0(VALU_DEP_3) | instskip(NEXT) | instid1(VALU_DEP_3)
	v_dual_fmac_f32 v44, 0x3df6dbef, v12 :: v_dual_add_f32 v39, v39, v41
	v_add_f32_e32 v0, v0, v9
	s_delay_alu instid0(VALU_DEP_4) | instskip(SKIP_3) | instid1(VALU_DEP_4)
	v_add_f32_e32 v17, v17, v97
	v_fma_f32 v41, 0xbf788fa5, v7, -v103
	v_fma_f32 v7, 0x3df6dbef, v7, -v115
	v_dual_add_f32 v35, v52, v139 :: v_dual_add_f32 v36, v38, v88
	v_dual_add_f32 v17, v17, v98 :: v_dual_add_f32 v38, v40, v48
	s_delay_alu instid0(VALU_DEP_3)
	v_dual_add_f32 v0, v0, v7 :: v_dual_add_f32 v39, v39, v41
	v_fma_f32 v40, 0xbf3f9e67, v6, -v104
	v_fma_f32 v41, 0xbf3f9e67, v5, -v94
	;; [unrolled: 1-line block ×4, first 2 shown]
	v_fmac_f32_e32 v107, 0x3f116cb1, v16
	v_fmac_f32_e32 v45, 0xbeb58ec6, v11
	v_fma_f32 v11, 0xbf3f9e67, v4, -v117
	v_mov_b32_e32 v4, 0
	v_dual_add_f32 v6, v0, v6 :: v_dual_add_f32 v17, v17, v99
	v_fmac_f32_e32 v112, 0x3f62ad3f, v8
	v_dual_add_f32 v40, v39, v40 :: v_dual_add_f32 v39, v38, v41
	v_fmac_f32_e32 v46, 0xbf3f9e67, v10
	s_delay_alu instid0(VALU_DEP_4)
	v_add_f32_e32 v38, v17, v100
	v_add_f32_e32 v17, v13, v107
	v_fmac_f32_e32 v43, 0x3f116cb1, v14
	v_fmac_f32_e32 v47, 0xbf788fa5, v8
	v_add_f32_e32 v13, v13, v42
	v_lshlrev_b64_e32 v[0:1], 3, v[1:2]
	v_add_f32_e32 v16, v17, v108
	v_add_f32_e32 v6, v6, v11
	v_lshlrev_b64_e32 v[2:3], 3, v[3:4]
	v_add_f32_e32 v9, v13, v43
	s_delay_alu instid0(VALU_DEP_4) | instskip(SKIP_1) | instid1(VALU_DEP_3)
	v_dual_fmac_f32 v111, 0x3df6dbef, v10 :: v_dual_add_f32 v14, v16, v109
	v_add_co_u32 v0, vcc_lo, s8, v0
	v_add_f32_e32 v7, v9, v44
	s_wait_alu 0xfffd
	v_add_co_ci_u32_e32 v1, vcc_lo, s9, v1, vcc_lo
	v_add_f32_e32 v12, v14, v110
	v_add_co_u32 v0, vcc_lo, v0, v2
	v_dual_add_f32 v7, v7, v45 :: v_dual_add_f32 v40, v40, v48
	v_fma_f32 v41, 0x3f62ad3f, v5, -v106
	s_delay_alu instid0(VALU_DEP_4) | instskip(SKIP_1) | instid1(VALU_DEP_4)
	v_add_f32_e32 v9, v12, v111
	v_fma_f32 v5, 0xbf788fa5, v5, -v118
	v_add_f32_e32 v7, v7, v46
	s_wait_alu 0xfffd
	v_add_co_ci_u32_e32 v1, vcc_lo, v1, v3, vcc_lo
	v_dual_add_f32 v34, v53, v83 :: v_dual_add_f32 v3, v40, v41
	s_delay_alu instid0(VALU_DEP_3)
	v_add_f32_e32 v4, v7, v47
	v_dual_add_f32 v2, v9, v112 :: v_dual_add_f32 v5, v6, v5
	s_clause 0xc
	global_store_b64 v[0:1], v[18:19], off
	global_store_b64 v[0:1], v[34:35], off offset:816
	global_store_b64 v[0:1], v[20:21], off offset:1632
	;; [unrolled: 1-line block ×12, first 2 shown]
.LBB0_27:
	s_nop 0
	s_sendmsg sendmsg(MSG_DEALLOC_VGPRS)
	s_endpgm
	.section	.rodata,"a",@progbits
	.p2align	6, 0x0
	.amdhsa_kernel fft_rtc_fwd_len1326_factors_17_6_13_wgs_204_tpt_102_halfLds_sp_ip_CI_unitstride_sbrr_dirReg
		.amdhsa_group_segment_fixed_size 0
		.amdhsa_private_segment_fixed_size 0
		.amdhsa_kernarg_size 88
		.amdhsa_user_sgpr_count 2
		.amdhsa_user_sgpr_dispatch_ptr 0
		.amdhsa_user_sgpr_queue_ptr 0
		.amdhsa_user_sgpr_kernarg_segment_ptr 1
		.amdhsa_user_sgpr_dispatch_id 0
		.amdhsa_user_sgpr_private_segment_size 0
		.amdhsa_wavefront_size32 1
		.amdhsa_uses_dynamic_stack 0
		.amdhsa_enable_private_segment 0
		.amdhsa_system_sgpr_workgroup_id_x 1
		.amdhsa_system_sgpr_workgroup_id_y 0
		.amdhsa_system_sgpr_workgroup_id_z 0
		.amdhsa_system_sgpr_workgroup_info 0
		.amdhsa_system_vgpr_workitem_id 0
		.amdhsa_next_free_vgpr 140
		.amdhsa_next_free_sgpr 32
		.amdhsa_reserve_vcc 1
		.amdhsa_float_round_mode_32 0
		.amdhsa_float_round_mode_16_64 0
		.amdhsa_float_denorm_mode_32 3
		.amdhsa_float_denorm_mode_16_64 3
		.amdhsa_fp16_overflow 0
		.amdhsa_workgroup_processor_mode 1
		.amdhsa_memory_ordered 1
		.amdhsa_forward_progress 0
		.amdhsa_round_robin_scheduling 0
		.amdhsa_exception_fp_ieee_invalid_op 0
		.amdhsa_exception_fp_denorm_src 0
		.amdhsa_exception_fp_ieee_div_zero 0
		.amdhsa_exception_fp_ieee_overflow 0
		.amdhsa_exception_fp_ieee_underflow 0
		.amdhsa_exception_fp_ieee_inexact 0
		.amdhsa_exception_int_div_zero 0
	.end_amdhsa_kernel
	.text
.Lfunc_end0:
	.size	fft_rtc_fwd_len1326_factors_17_6_13_wgs_204_tpt_102_halfLds_sp_ip_CI_unitstride_sbrr_dirReg, .Lfunc_end0-fft_rtc_fwd_len1326_factors_17_6_13_wgs_204_tpt_102_halfLds_sp_ip_CI_unitstride_sbrr_dirReg
                                        ; -- End function
	.section	.AMDGPU.csdata,"",@progbits
; Kernel info:
; codeLenInByte = 13152
; NumSgprs: 34
; NumVgprs: 140
; ScratchSize: 0
; MemoryBound: 0
; FloatMode: 240
; IeeeMode: 1
; LDSByteSize: 0 bytes/workgroup (compile time only)
; SGPRBlocks: 4
; VGPRBlocks: 17
; NumSGPRsForWavesPerEU: 34
; NumVGPRsForWavesPerEU: 140
; Occupancy: 10
; WaveLimiterHint : 1
; COMPUTE_PGM_RSRC2:SCRATCH_EN: 0
; COMPUTE_PGM_RSRC2:USER_SGPR: 2
; COMPUTE_PGM_RSRC2:TRAP_HANDLER: 0
; COMPUTE_PGM_RSRC2:TGID_X_EN: 1
; COMPUTE_PGM_RSRC2:TGID_Y_EN: 0
; COMPUTE_PGM_RSRC2:TGID_Z_EN: 0
; COMPUTE_PGM_RSRC2:TIDIG_COMP_CNT: 0
	.text
	.p2alignl 7, 3214868480
	.fill 96, 4, 3214868480
	.type	__hip_cuid_fb1202decce5170f,@object ; @__hip_cuid_fb1202decce5170f
	.section	.bss,"aw",@nobits
	.globl	__hip_cuid_fb1202decce5170f
__hip_cuid_fb1202decce5170f:
	.byte	0                               ; 0x0
	.size	__hip_cuid_fb1202decce5170f, 1

	.ident	"AMD clang version 19.0.0git (https://github.com/RadeonOpenCompute/llvm-project roc-6.4.0 25133 c7fe45cf4b819c5991fe208aaa96edf142730f1d)"
	.section	".note.GNU-stack","",@progbits
	.addrsig
	.addrsig_sym __hip_cuid_fb1202decce5170f
	.amdgpu_metadata
---
amdhsa.kernels:
  - .args:
      - .actual_access:  read_only
        .address_space:  global
        .offset:         0
        .size:           8
        .value_kind:     global_buffer
      - .offset:         8
        .size:           8
        .value_kind:     by_value
      - .actual_access:  read_only
        .address_space:  global
        .offset:         16
        .size:           8
        .value_kind:     global_buffer
      - .actual_access:  read_only
        .address_space:  global
        .offset:         24
        .size:           8
        .value_kind:     global_buffer
      - .offset:         32
        .size:           8
        .value_kind:     by_value
      - .actual_access:  read_only
        .address_space:  global
        .offset:         40
        .size:           8
        .value_kind:     global_buffer
      - .actual_access:  read_only
        .address_space:  global
        .offset:         48
        .size:           8
        .value_kind:     global_buffer
      - .offset:         56
        .size:           4
        .value_kind:     by_value
      - .actual_access:  read_only
        .address_space:  global
        .offset:         64
        .size:           8
        .value_kind:     global_buffer
      - .actual_access:  read_only
        .address_space:  global
        .offset:         72
        .size:           8
        .value_kind:     global_buffer
      - .address_space:  global
        .offset:         80
        .size:           8
        .value_kind:     global_buffer
    .group_segment_fixed_size: 0
    .kernarg_segment_align: 8
    .kernarg_segment_size: 88
    .language:       OpenCL C
    .language_version:
      - 2
      - 0
    .max_flat_workgroup_size: 204
    .name:           fft_rtc_fwd_len1326_factors_17_6_13_wgs_204_tpt_102_halfLds_sp_ip_CI_unitstride_sbrr_dirReg
    .private_segment_fixed_size: 0
    .sgpr_count:     34
    .sgpr_spill_count: 0
    .symbol:         fft_rtc_fwd_len1326_factors_17_6_13_wgs_204_tpt_102_halfLds_sp_ip_CI_unitstride_sbrr_dirReg.kd
    .uniform_work_group_size: 1
    .uses_dynamic_stack: false
    .vgpr_count:     140
    .vgpr_spill_count: 0
    .wavefront_size: 32
    .workgroup_processor_mode: 1
amdhsa.target:   amdgcn-amd-amdhsa--gfx1201
amdhsa.version:
  - 1
  - 2
...

	.end_amdgpu_metadata
